;; amdgpu-corpus repo=ROCm/rocFFT kind=compiled arch=gfx906 opt=O3
	.text
	.amdgcn_target "amdgcn-amd-amdhsa--gfx906"
	.amdhsa_code_object_version 6
	.protected	bluestein_single_back_len364_dim1_dp_op_CI_CI ; -- Begin function bluestein_single_back_len364_dim1_dp_op_CI_CI
	.globl	bluestein_single_back_len364_dim1_dp_op_CI_CI
	.p2align	8
	.type	bluestein_single_back_len364_dim1_dp_op_CI_CI,@function
bluestein_single_back_len364_dim1_dp_op_CI_CI: ; @bluestein_single_back_len364_dim1_dp_op_CI_CI
; %bb.0:
	s_mov_b64 s[50:51], s[2:3]
	s_mov_b64 s[48:49], s[0:1]
	v_mul_u32_u24_e32 v1, 0x4ed, v0
	s_add_u32 s48, s48, s7
	v_add_u32_sdwa v3, s6, v1 dst_sel:DWORD dst_unused:UNUSED_PAD src0_sel:DWORD src1_sel:WORD_1
	s_addc_u32 s49, s49, 0
	v_mov_b32_e32 v2, v3
	buffer_store_dword v2, off, s[48:51], 0 ; 4-byte Folded Spill
	s_nop 0
	buffer_store_dword v3, off, s[48:51], 0 offset:4 ; 4-byte Folded Spill
	s_load_dwordx4 s[0:3], s[4:5], 0x28
	v_mov_b32_e32 v4, 0
	s_waitcnt lgkmcnt(0)
	v_cmp_gt_u64_e32 vcc, s[0:1], v[3:4]
	s_and_saveexec_b64 s[0:1], vcc
	s_cbranch_execz .LBB0_23
; %bb.1:
	s_load_dwordx2 s[12:13], s[4:5], 0x0
	s_load_dwordx2 s[6:7], s[4:5], 0x38
	v_mov_b32_e32 v2, 52
	v_mul_lo_u16_sdwa v1, v1, v2 dst_sel:DWORD dst_unused:UNUSED_PAD src0_sel:WORD_1 src1_sel:DWORD
	v_sub_u16_e32 v112, v0, v1
	v_cmp_gt_u16_e64 s[0:1], 28, v112
	v_lshlrev_b32_e32 v245, 4, v112
	s_and_saveexec_b64 s[14:15], s[0:1]
	s_cbranch_execz .LBB0_3
; %bb.2:
	s_load_dwordx2 s[8:9], s[4:5], 0x18
	v_or_b32_e32 v59, 0xe0, v112
	s_waitcnt lgkmcnt(0)
	v_mov_b32_e32 v56, s13
	v_mov_b32_e32 v62, 0x380
	s_load_dwordx4 s[8:11], s[8:9], 0x0
	buffer_load_dword v0, off, s[48:51], 0  ; 4-byte Folded Reload
	buffer_load_dword v1, off, s[48:51], 0 offset:4 ; 4-byte Folded Reload
	s_waitcnt lgkmcnt(0)
	v_mad_u64_u32 v[2:3], s[16:17], s8, v112, 0
	s_waitcnt vmcnt(1)
	v_mov_b32_e32 v4, v0
	s_waitcnt vmcnt(0)
	v_mad_u64_u32 v[0:1], s[16:17], s10, v4, 0
	v_mad_u64_u32 v[4:5], s[10:11], s11, v4, v[1:2]
	;; [unrolled: 1-line block ×4, first 2 shown]
	v_mov_b32_e32 v1, v4
	v_lshlrev_b64 v[0:1], 4, v[0:1]
	v_mov_b32_e32 v3, v5
	v_mov_b32_e32 v6, s3
	v_lshlrev_b64 v[2:3], 4, v[2:3]
	v_add_co_u32_e32 v57, vcc, s2, v0
	v_addc_co_u32_e32 v58, vcc, v6, v1, vcc
	v_add_co_u32_e32 v16, vcc, v57, v2
	s_mul_i32 s2, s9, 0x1c0
	s_mul_hi_u32 s3, s8, 0x1c0
	v_addc_co_u32_e32 v17, vcc, v58, v3, vcc
	s_add_i32 s2, s3, s2
	s_mul_i32 s3, s8, 0x1c0
	v_mov_b32_e32 v0, s2
	v_add_co_u32_e32 v18, vcc, s3, v16
	v_addc_co_u32_e32 v19, vcc, v17, v0, vcc
	global_load_dwordx4 v[0:3], v[16:17], off
	global_load_dwordx4 v[4:7], v[18:19], off
	global_load_dwordx4 v[8:11], v245, s[12:13]
	global_load_dwordx4 v[12:15], v245, s[12:13] offset:448
	v_mov_b32_e32 v16, s2
	v_add_co_u32_e32 v32, vcc, s3, v18
	v_addc_co_u32_e32 v33, vcc, v19, v16, vcc
	v_add_co_u32_e32 v34, vcc, s3, v32
	v_addc_co_u32_e32 v35, vcc, v33, v16, vcc
	global_load_dwordx4 v[16:19], v[32:33], off
	global_load_dwordx4 v[20:23], v[34:35], off
	global_load_dwordx4 v[24:27], v245, s[12:13] offset:896
	global_load_dwordx4 v[28:31], v245, s[12:13] offset:1344
	v_mov_b32_e32 v32, s2
	v_add_co_u32_e32 v52, vcc, s3, v34
	v_addc_co_u32_e32 v53, vcc, v35, v32, vcc
	v_add_co_u32_e32 v86, vcc, s12, v245
	v_addc_co_u32_e32 v87, vcc, 0, v56, vcc
	v_mad_u64_u32 v[55:56], s[10:11], s9, v59, v[55:56]
	global_load_dwordx4 v[32:35], v[52:53], off
	v_mov_b32_e32 v59, s2
	v_lshlrev_b64 v[54:55], 4, v[54:55]
	global_load_dwordx4 v[36:39], v245, s[12:13] offset:1792
	global_load_dwordx4 v[40:43], v245, s[12:13] offset:2240
	;; [unrolled: 1-line block ×4, first 2 shown]
	v_add_co_u32_e32 v68, vcc, v57, v54
	v_addc_co_u32_e32 v69, vcc, v58, v55, vcc
	v_add_co_u32_e32 v56, vcc, s3, v52
	v_addc_co_u32_e32 v57, vcc, v53, v59, vcc
	v_mov_b32_e32 v61, s2
	v_add_co_u32_e32 v60, vcc, s3, v56
	v_addc_co_u32_e32 v61, vcc, v57, v61, vcc
	v_mov_b32_e32 v63, s2
	v_add_co_u32_e32 v70, vcc, s3, v60
	v_addc_co_u32_e32 v71, vcc, v61, v63, vcc
	v_mad_u64_u32 v[80:81], s[10:11], s8, v62, v[70:71]
	global_load_dwordx4 v[52:55], v[56:57], off
	s_mul_i32 s8, s9, 0x380
	v_add_u32_e32 v81, s8, v81
	v_mov_b32_e32 v82, s2
	v_add_co_u32_e32 v84, vcc, s3, v80
	v_addc_co_u32_e32 v85, vcc, v81, v82, vcc
	s_movk_i32 s8, 0x1000
	global_load_dwordx4 v[56:59], v[60:61], off
	v_add_co_u32_e32 v104, vcc, s8, v86
	v_addc_co_u32_e32 v105, vcc, 0, v87, vcc
	global_load_dwordx4 v[60:63], v[70:71], off
	global_load_dwordx4 v[64:67], v[68:69], off
	v_mov_b32_e32 v86, s2
	v_add_co_u32_e32 v96, vcc, s3, v84
	global_load_dwordx4 v[68:71], v[80:81], off
	global_load_dwordx4 v[72:75], v245, s[12:13] offset:3584
	global_load_dwordx4 v[76:79], v245, s[12:13] offset:4032
	v_addc_co_u32_e32 v97, vcc, v85, v86, vcc
	global_load_dwordx4 v[80:83], v[84:85], off
	v_mov_b32_e32 v98, s2
	v_add_co_u32_e32 v106, vcc, s3, v96
	global_load_dwordx4 v[84:87], v[96:97], off
	global_load_dwordx4 v[88:91], v[104:105], off offset:384
	global_load_dwordx4 v[92:95], v[104:105], off offset:832
	v_addc_co_u32_e32 v107, vcc, v97, v98, vcc
	global_load_dwordx4 v[96:99], v[106:107], off
	global_load_dwordx4 v[100:103], v[104:105], off offset:1280
	s_waitcnt vmcnt(23)
	v_mul_f64 v[104:105], v[2:3], v[10:11]
	v_mul_f64 v[10:11], v[0:1], v[10:11]
	s_waitcnt vmcnt(22)
	v_mul_f64 v[106:107], v[6:7], v[14:15]
	v_fma_f64 v[0:1], v[0:1], v[8:9], v[104:105]
	v_fma_f64 v[2:3], v[2:3], v[8:9], -v[10:11]
	v_mul_f64 v[8:9], v[4:5], v[14:15]
	s_waitcnt vmcnt(19)
	v_mul_f64 v[10:11], v[18:19], v[26:27]
	v_mul_f64 v[14:15], v[16:17], v[26:27]
	s_waitcnt vmcnt(18)
	v_mul_f64 v[26:27], v[22:23], v[30:31]
	v_mul_f64 v[30:31], v[20:21], v[30:31]
	v_fma_f64 v[4:5], v[4:5], v[12:13], v[106:107]
	v_fma_f64 v[6:7], v[6:7], v[12:13], -v[8:9]
	v_fma_f64 v[8:9], v[16:17], v[24:25], v[10:11]
	v_fma_f64 v[10:11], v[18:19], v[24:25], -v[14:15]
	;; [unrolled: 2-line block ×3, first 2 shown]
	s_waitcnt vmcnt(16)
	v_mul_f64 v[104:105], v[34:35], v[38:39]
	v_mul_f64 v[38:39], v[32:33], v[38:39]
	ds_write_b128 v245, v[0:3]
	ds_write_b128 v245, v[4:7] offset:448
	ds_write_b128 v245, v[8:11] offset:896
	;; [unrolled: 1-line block ×3, first 2 shown]
	v_fma_f64 v[16:17], v[32:33], v[36:37], v[104:105]
	v_fma_f64 v[18:19], v[34:35], v[36:37], -v[38:39]
	ds_write_b128 v245, v[16:19] offset:1792
	s_waitcnt vmcnt(12)
	v_mul_f64 v[20:21], v[54:55], v[42:43]
	v_mul_f64 v[2:3], v[52:53], v[42:43]
	v_fma_f64 v[0:1], v[52:53], v[40:41], v[20:21]
	s_waitcnt vmcnt(11)
	v_mul_f64 v[4:5], v[58:59], v[46:47]
	v_mul_f64 v[6:7], v[56:57], v[46:47]
	v_fma_f64 v[2:3], v[54:55], v[40:41], -v[2:3]
	s_waitcnt vmcnt(10)
	v_mul_f64 v[8:9], v[62:63], v[50:51]
	v_mul_f64 v[10:11], v[60:61], v[50:51]
	s_waitcnt vmcnt(7)
	v_mul_f64 v[12:13], v[66:67], v[74:75]
	v_mul_f64 v[14:15], v[64:65], v[74:75]
	;; [unrolled: 3-line block ×3, first 2 shown]
	v_fma_f64 v[4:5], v[56:57], v[44:45], v[4:5]
	v_fma_f64 v[6:7], v[58:59], v[44:45], -v[6:7]
	v_fma_f64 v[8:9], v[60:61], v[48:49], v[8:9]
	s_waitcnt vmcnt(3)
	v_mul_f64 v[20:21], v[82:83], v[90:91]
	v_mul_f64 v[22:23], v[80:81], v[90:91]
	s_waitcnt vmcnt(2)
	v_mul_f64 v[24:25], v[86:87], v[94:95]
	v_mul_f64 v[26:27], v[84:85], v[94:95]
	;; [unrolled: 3-line block ×3, first 2 shown]
	v_fma_f64 v[10:11], v[62:63], v[48:49], -v[10:11]
	v_fma_f64 v[12:13], v[64:65], v[72:73], v[12:13]
	v_fma_f64 v[14:15], v[66:67], v[72:73], -v[14:15]
	v_fma_f64 v[16:17], v[68:69], v[76:77], v[16:17]
	;; [unrolled: 2-line block ×5, first 2 shown]
	v_fma_f64 v[30:31], v[98:99], v[100:101], -v[30:31]
	ds_write_b128 v245, v[0:3] offset:2240
	ds_write_b128 v245, v[4:7] offset:2688
	;; [unrolled: 1-line block ×8, first 2 shown]
.LBB0_3:
	s_or_b64 exec, exec, s[14:15]
	s_load_dwordx2 s[2:3], s[4:5], 0x20
	s_load_dwordx2 s[14:15], s[4:5], 0x8
	s_waitcnt lgkmcnt(0)
	; wave barrier
	s_waitcnt lgkmcnt(0)
                                        ; implicit-def: $vgpr20_vgpr21
                                        ; implicit-def: $vgpr24_vgpr25
                                        ; implicit-def: $vgpr28_vgpr29
                                        ; implicit-def: $vgpr36_vgpr37
                                        ; implicit-def: $vgpr44_vgpr45
                                        ; implicit-def: $vgpr56_vgpr57
                                        ; implicit-def: $vgpr60_vgpr61
                                        ; implicit-def: $vgpr64_vgpr65
                                        ; implicit-def: $vgpr68_vgpr69
                                        ; implicit-def: $vgpr52_vgpr53
                                        ; implicit-def: $vgpr48_vgpr49
                                        ; implicit-def: $vgpr40_vgpr41
                                        ; implicit-def: $vgpr32_vgpr33
	s_and_saveexec_b64 s[4:5], s[0:1]
	s_cbranch_execz .LBB0_5
; %bb.4:
	ds_read_b128 v[20:23], v245
	ds_read_b128 v[32:35], v245 offset:448
	ds_read_b128 v[40:43], v245 offset:896
	;; [unrolled: 1-line block ×12, first 2 shown]
.LBB0_5:
	s_or_b64 exec, exec, s[4:5]
	s_waitcnt lgkmcnt(0)
	v_add_f64 v[243:244], v[48:49], -v[44:45]
	s_mov_b32 s30, 0x66966769
	v_add_f64 v[12:13], v[34:35], -v[70:71]
	s_mov_b32 s31, 0xbfefc445
	s_mov_b32 s37, 0x3fefc445
	;; [unrolled: 1-line block ×5, first 2 shown]
	v_mul_f64 v[80:81], v[243:244], s[36:37]
	v_add_f64 v[92:93], v[68:69], v[32:33]
	v_add_f64 v[16:17], v[42:43], -v[66:67]
	v_add_f64 v[14:15], v[32:33], -v[68:69]
	v_mul_f64 v[76:77], v[12:13], s[18:19]
	s_mov_b32 s4, 0xe00740e9
	s_mov_b32 s24, 0x42a4c3d2
	;; [unrolled: 1-line block ×3, first 2 shown]
	buffer_store_dword v80, off, s[48:51], 0 offset:8 ; 4-byte Folded Spill
	s_nop 0
	buffer_store_dword v81, off, s[48:51], 0 offset:12 ; 4-byte Folded Spill
	s_mov_b32 s25, 0xbfea55e2
	v_add_f64 v[100:101], v[64:65], v[40:41]
	v_add_f64 v[117:118], v[70:71], v[34:35]
	v_add_f64 v[18:19], v[40:41], -v[64:65]
	v_mul_f64 v[78:79], v[16:17], s[24:25]
	v_mul_f64 v[127:128], v[14:15], s[18:19]
	v_fma_f64 v[0:1], v[92:93], s[4:5], v[76:77]
	v_add_f64 v[72:73], v[26:27], -v[62:63]
	s_mov_b32 s8, 0x1ea71119
	s_mov_b32 s9, 0x3fe22d96
	v_add_f64 v[104:105], v[66:67], v[42:43]
	v_mul_f64 v[84:85], v[18:19], s[24:25]
	v_fma_f64 v[2:3], v[100:101], s[8:9], v[78:79]
	v_fma_f64 v[4:5], v[117:118], s[4:5], -v[127:128]
	v_add_f64 v[0:1], v[20:21], v[0:1]
	v_add_f64 v[113:114], v[24:25], v[60:61]
	v_mul_f64 v[82:83], v[72:73], s[30:31]
	v_add_f64 v[74:75], v[24:25], -v[60:61]
	v_add_f64 v[223:224], v[30:31], -v[58:59]
	s_mov_b32 s10, 0xebaa3ed8
	s_mov_b32 s26, 0x2ef20147
	s_mov_b32 s11, 0x3fbedb7d
	s_mov_b32 s27, 0xbfedeba7
	v_fma_f64 v[6:7], v[104:105], s[8:9], -v[84:85]
	v_add_f64 v[4:5], v[22:23], v[4:5]
	v_add_f64 v[0:1], v[2:3], v[0:1]
	v_fma_f64 v[2:3], v[113:114], s[10:11], v[82:83]
	v_add_f64 v[131:132], v[26:27], v[62:63]
	v_mul_f64 v[88:89], v[74:75], s[30:31]
	v_add_f64 v[121:122], v[28:29], v[56:57]
	v_mul_f64 v[86:87], v[223:224], s[26:27]
	v_add_f64 v[237:238], v[28:29], -v[56:57]
	v_add_f64 v[241:242], v[50:51], -v[46:47]
	s_mov_b32 s20, 0xb2365da1
	s_mov_b32 s28, 0x24c2f84
	;; [unrolled: 1-line block ×4, first 2 shown]
	v_add_f64 v[4:5], v[6:7], v[4:5]
	v_add_f64 v[0:1], v[2:3], v[0:1]
	v_fma_f64 v[2:3], v[131:132], s[10:11], -v[88:89]
	v_fma_f64 v[6:7], v[121:122], s[20:21], v[86:87]
	v_add_f64 v[141:142], v[30:31], v[58:59]
	v_mul_f64 v[94:95], v[237:238], s[26:27]
	v_add_f64 v[133:134], v[44:45], v[48:49]
	v_mul_f64 v[90:91], v[241:242], s[28:29]
	s_mov_b32 s16, 0xd0032e0c
	s_mov_b32 s17, 0xbfe7f3cc
	v_add_f64 v[2:3], v[2:3], v[4:5]
	v_add_f64 v[0:1], v[6:7], v[0:1]
	;; [unrolled: 1-line block ×3, first 2 shown]
	v_fma_f64 v[4:5], v[141:142], s[20:21], -v[94:95]
	v_mul_f64 v[96:97], v[243:244], s[28:29]
	v_fma_f64 v[6:7], v[133:134], s[16:17], v[90:91]
	v_mul_f64 v[106:107], v[12:13], s[24:25]
	v_mul_f64 v[143:144], v[14:15], s[24:25]
	v_add_f64 v[249:250], v[52:53], -v[36:37]
	s_mov_b32 s34, 0x4bc48dbf
	s_mov_b32 s35, 0xbfcea1e5
	v_add_f64 v[2:3], v[4:5], v[2:3]
	v_fma_f64 v[4:5], v[147:148], s[16:17], -v[96:97]
	v_add_f64 v[0:1], v[6:7], v[0:1]
	v_add_f64 v[247:248], v[54:55], -v[38:39]
	v_fma_f64 v[6:7], v[92:93], s[8:9], v[106:107]
	v_mul_f64 v[108:109], v[16:17], s[26:27]
	v_fma_f64 v[8:9], v[117:118], s[8:9], -v[143:144]
	v_mul_f64 v[119:120], v[18:19], s[26:27]
	v_add_f64 v[167:168], v[38:39], v[54:55]
	v_mul_f64 v[102:103], v[249:250], s[34:35]
	s_mov_b32 s22, 0x93053d00
	s_mov_b32 s23, 0xbfef11f4
	v_add_f64 v[159:160], v[36:37], v[52:53]
	v_mul_f64 v[98:99], v[247:248], s[34:35]
	v_add_f64 v[6:7], v[20:21], v[6:7]
	v_fma_f64 v[10:11], v[100:101], s[20:21], v[108:109]
	v_add_f64 v[8:9], v[22:23], v[8:9]
	v_fma_f64 v[115:116], v[104:105], s[20:21], -v[119:120]
	v_mul_f64 v[110:111], v[72:73], s[34:35]
	v_mul_f64 v[125:126], v[74:75], s[34:35]
	v_add_f64 v[2:3], v[4:5], v[2:3]
	v_fma_f64 v[4:5], v[167:168], s[22:23], -v[102:103]
	v_mul_f64 v[137:138], v[12:13], s[30:31]
	v_mul_f64 v[169:170], v[14:15], s[30:31]
	s_mov_b32 s39, 0x3fe5384d
	s_mov_b32 s38, s28
	v_fma_f64 v[123:124], v[159:160], s[22:23], v[98:99]
	v_add_f64 v[6:7], v[10:11], v[6:7]
	v_add_f64 v[8:9], v[115:116], v[8:9]
	v_fma_f64 v[10:11], v[113:114], s[22:23], v[110:111]
	v_fma_f64 v[129:130], v[131:132], s[22:23], -v[125:126]
	v_mul_f64 v[115:116], v[223:224], s[38:39]
	v_mul_f64 v[135:136], v[237:238], s[38:39]
	v_add_f64 v[2:3], v[4:5], v[2:3]
	v_fma_f64 v[4:5], v[92:93], s[10:11], v[137:138]
	v_mul_f64 v[145:146], v[16:17], s[34:35]
	v_fma_f64 v[139:140], v[117:118], s[10:11], -v[169:170]
	v_mul_f64 v[171:172], v[18:19], s[34:35]
	s_mov_b32 s41, 0x3fedeba7
	s_mov_b32 s40, s26
	v_add_f64 v[0:1], v[123:124], v[0:1]
	v_add_f64 v[6:7], v[10:11], v[6:7]
	;; [unrolled: 1-line block ×3, first 2 shown]
	v_fma_f64 v[10:11], v[121:122], s[16:17], v[115:116]
	v_fma_f64 v[129:130], v[141:142], s[16:17], -v[135:136]
	v_mul_f64 v[123:124], v[241:242], s[36:37]
	v_add_f64 v[4:5], v[20:21], v[4:5]
	v_fma_f64 v[151:152], v[100:101], s[22:23], v[145:146]
	v_add_f64 v[155:156], v[22:23], v[139:140]
	v_fma_f64 v[157:158], v[104:105], s[22:23], -v[171:172]
	v_mul_f64 v[149:150], v[72:73], s[40:41]
	v_mul_f64 v[153:154], v[74:75], s[40:41]
	s_mov_b32 s19, 0x3fddbe06
	v_add_f64 v[6:7], v[10:11], v[6:7]
	v_add_f64 v[8:9], v[129:130], v[8:9]
	v_fma_f64 v[10:11], v[133:134], s[10:11], v[123:124]
	v_fma_f64 v[161:162], v[147:148], s[10:11], -v[80:81]
	v_mul_f64 v[129:130], v[247:248], s[18:19]
	v_mul_f64 v[80:81], v[249:250], s[18:19]
	v_add_f64 v[4:5], v[151:152], v[4:5]
	v_add_f64 v[157:158], v[157:158], v[155:156]
	v_fma_f64 v[163:164], v[113:114], s[20:21], v[149:150]
	v_fma_f64 v[165:166], v[131:132], s[20:21], -v[153:154]
	v_mul_f64 v[151:152], v[223:224], s[18:19]
	v_mul_f64 v[155:156], v[237:238], s[18:19]
	v_add_f64 v[6:7], v[10:11], v[6:7]
	v_fma_f64 v[10:11], v[159:160], s[4:5], v[129:130]
	v_add_f64 v[8:9], v[161:162], v[8:9]
	v_fma_f64 v[161:162], v[167:168], s[4:5], -v[80:81]
	v_add_f64 v[175:176], v[163:164], v[4:5]
	v_add_f64 v[165:166], v[165:166], v[157:158]
	v_fma_f64 v[177:178], v[121:122], s[4:5], v[151:152]
	v_fma_f64 v[179:180], v[141:142], s[4:5], -v[155:156]
	v_mul_f64 v[173:174], v[12:13], s[26:27]
	v_mul_f64 v[183:184], v[14:15], s[26:27]
	v_add_f64 v[4:5], v[10:11], v[6:7]
	v_add_f64 v[6:7], v[161:162], v[8:9]
	v_mul_f64 v[185:186], v[18:19], s[38:39]
	v_mul_f64 v[163:164], v[243:244], s[24:25]
	v_add_f64 v[8:9], v[177:178], v[175:176]
	v_add_f64 v[10:11], v[179:180], v[165:166]
	v_fma_f64 v[177:178], v[92:93], s[20:21], v[173:174]
	v_mul_f64 v[175:176], v[16:17], s[38:39]
	v_fma_f64 v[179:180], v[117:118], s[20:21], -v[183:184]
	v_mul_f64 v[187:188], v[74:75], s[18:19]
	v_fma_f64 v[195:196], v[104:105], s[16:17], -v[185:186]
	;; [unrolled: 2-line block ×3, first 2 shown]
	v_mul_f64 v[165:166], v[249:250], s[28:29]
	v_add_f64 v[191:192], v[20:21], v[177:178]
	v_fma_f64 v[193:194], v[100:101], s[16:17], v[175:176]
	v_add_f64 v[179:180], v[22:23], v[179:180]
	v_mul_f64 v[177:178], v[72:73], s[18:19]
	v_fma_f64 v[201:202], v[131:132], s[4:5], -v[187:188]
	v_mul_f64 v[197:198], v[12:13], s[28:29]
	v_mul_f64 v[209:210], v[14:15], s[28:29]
	v_fma_f64 v[181:182], v[133:134], s[8:9], v[157:158]
	v_mul_f64 v[161:162], v[247:248], s[28:29]
	v_add_f64 v[191:192], v[193:194], v[191:192]
	v_add_f64 v[193:194], v[195:196], v[179:180]
	v_fma_f64 v[195:196], v[113:114], s[4:5], v[177:178]
	v_add_f64 v[10:11], v[189:190], v[10:11]
	v_fma_f64 v[199:200], v[167:168], s[16:17], -v[165:166]
	v_mul_f64 v[179:180], v[223:224], s[30:31]
	v_mul_f64 v[189:190], v[237:238], s[30:31]
	v_fma_f64 v[205:206], v[92:93], s[16:17], v[197:198]
	v_fma_f64 v[207:208], v[117:118], s[16:17], -v[209:210]
	v_mul_f64 v[211:212], v[18:19], s[36:37]
	v_add_f64 v[191:192], v[195:196], v[191:192]
	v_add_f64 v[195:196], v[201:202], v[193:194]
	v_mul_f64 v[201:202], v[16:17], s[36:37]
	v_add_f64 v[8:9], v[181:182], v[8:9]
	v_fma_f64 v[181:182], v[159:160], s[16:17], v[161:162]
	v_add_f64 v[10:11], v[199:200], v[10:11]
	v_fma_f64 v[199:200], v[121:122], s[10:11], v[179:180]
	v_fma_f64 v[203:204], v[141:142], s[10:11], -v[189:190]
	v_add_f64 v[213:214], v[20:21], v[205:206]
	v_add_f64 v[207:208], v[22:23], v[207:208]
	v_fma_f64 v[217:218], v[100:101], s[10:11], v[201:202]
	v_fma_f64 v[219:220], v[104:105], s[10:11], -v[211:212]
	v_mul_f64 v[205:206], v[72:73], s[24:25]
	v_mul_f64 v[215:216], v[74:75], s[24:25]
	s_mov_b32 s31, 0x3fcea1e5
	s_mov_b32 s30, s34
	v_add_f64 v[8:9], v[181:182], v[8:9]
	v_mul_f64 v[181:182], v[241:242], s[30:31]
	v_mul_f64 v[193:194], v[243:244], s[30:31]
	v_add_f64 v[221:222], v[199:200], v[191:192]
	v_add_f64 v[225:226], v[203:204], v[195:196]
	;; [unrolled: 1-line block ×4, first 2 shown]
	v_fma_f64 v[213:214], v[113:114], s[8:9], v[205:206]
	v_fma_f64 v[219:220], v[131:132], s[8:9], -v[215:216]
	v_mul_f64 v[199:200], v[223:224], s[30:31]
	v_mul_f64 v[217:218], v[237:238], s[30:31]
	s_mov_b32 s25, 0x3fea55e2
	v_fma_f64 v[227:228], v[133:134], s[22:23], v[181:182]
	v_fma_f64 v[229:230], v[147:148], s[22:23], -v[193:194]
	v_mul_f64 v[191:192], v[247:248], s[24:25]
	v_mul_f64 v[195:196], v[249:250], s[24:25]
	v_add_f64 v[231:232], v[213:214], v[203:204]
	v_add_f64 v[207:208], v[219:220], v[207:208]
	v_fma_f64 v[219:220], v[121:122], s[22:23], v[199:200]
	v_fma_f64 v[233:234], v[141:142], s[22:23], -v[217:218]
	v_mul_f64 v[203:204], v[241:242], s[18:19]
	v_mul_f64 v[213:214], v[243:244], s[18:19]
	v_add_f64 v[227:228], v[227:228], v[221:222]
	v_add_f64 v[225:226], v[229:230], v[225:226]
	v_fma_f64 v[229:230], v[159:160], s[8:9], v[191:192]
	v_fma_f64 v[235:236], v[167:168], s[8:9], -v[195:196]
	v_add_f64 v[239:240], v[219:220], v[231:232]
	v_add_f64 v[233:234], v[233:234], v[207:208]
	v_fma_f64 v[251:252], v[133:134], s[4:5], v[203:204]
	v_fma_f64 v[253:254], v[147:148], s[4:5], -v[213:214]
	v_mul_f64 v[207:208], v[247:248], s[26:27]
	v_mul_f64 v[219:220], v[249:250], s[26:27]
	;; [unrolled: 1-line block ×4, first 2 shown]
	v_add_f64 v[12:13], v[229:230], v[227:228]
	v_add_f64 v[14:15], v[235:236], v[225:226]
	;; [unrolled: 1-line block ×4, first 2 shown]
	v_fma_f64 v[233:234], v[159:160], s[20:21], v[207:208]
	v_fma_f64 v[239:240], v[167:168], s[20:21], -v[219:220]
	v_fma_f64 v[251:252], v[92:93], s[22:23], v[221:222]
	v_mul_f64 v[227:228], v[16:17], s[18:19]
	v_fma_f64 v[253:254], v[117:118], s[22:23], -v[231:232]
	v_mul_f64 v[235:236], v[18:19], s[18:19]
	v_mul_lo_u16_e32 v246, 13, v112
	v_add_f64 v[16:17], v[233:234], v[225:226]
	v_add_f64 v[18:19], v[239:240], v[229:230]
	;; [unrolled: 1-line block ×3, first 2 shown]
	v_fma_f64 v[239:240], v[100:101], s[4:5], v[227:228]
	v_add_f64 v[251:252], v[22:23], v[253:254]
	v_fma_f64 v[253:254], v[104:105], s[4:5], -v[235:236]
	v_mul_f64 v[229:230], v[72:73], s[28:29]
	v_mul_f64 v[233:234], v[74:75], s[28:29]
	; wave barrier
	v_add_f64 v[72:73], v[239:240], v[225:226]
	v_mul_f64 v[225:226], v[223:224], s[24:25]
	v_add_f64 v[74:75], v[253:254], v[251:252]
	v_fma_f64 v[251:252], v[113:114], s[16:17], v[229:230]
	v_fma_f64 v[253:254], v[131:132], s[16:17], -v[233:234]
	v_mul_f64 v[239:240], v[237:238], s[24:25]
	v_mul_f64 v[237:238], v[241:242], s[26:27]
	;; [unrolled: 1-line block ×4, first 2 shown]
	v_fma_f64 v[223:224], v[121:122], s[8:9], v[225:226]
	v_add_f64 v[72:73], v[251:252], v[72:73]
	v_add_f64 v[74:75], v[253:254], v[74:75]
	v_fma_f64 v[251:252], v[141:142], s[8:9], -v[239:240]
	v_fma_f64 v[253:254], v[147:148], s[20:21], -v[241:242]
	;; [unrolled: 1-line block ×3, first 2 shown]
	v_add_f64 v[72:73], v[223:224], v[72:73]
	v_mul_f64 v[223:224], v[247:248], s[36:37]
	v_add_f64 v[74:75], v[251:252], v[74:75]
	v_fma_f64 v[251:252], v[133:134], s[20:21], v[237:238]
	v_fma_f64 v[247:248], v[159:160], s[10:11], v[223:224]
	v_add_f64 v[74:75], v[253:254], v[74:75]
	v_add_f64 v[72:73], v[251:252], v[72:73]
	;; [unrolled: 1-line block ×4, first 2 shown]
	s_and_saveexec_b64 s[18:19], s[0:1]
	s_cbranch_execz .LBB0_7
; %bb.6:
	v_mul_f64 v[248:249], v[167:168], s[10:11]
	v_mul_f64 v[250:251], v[147:148], s[20:21]
	;; [unrolled: 1-line block ×3, first 2 shown]
	v_add_f64 v[32:33], v[20:21], v[32:33]
	v_mul_f64 v[254:255], v[133:134], s[16:17]
	v_add_f64 v[34:35], v[22:23], v[34:35]
	v_mov_b32_e32 v140, v99
	v_mov_b32_e32 v139, v98
	v_add_f64 v[243:244], v[243:244], v[248:249]
	v_mul_f64 v[248:249], v[117:118], s[22:23]
	v_add_f64 v[241:242], v[241:242], v[250:251]
	v_mul_f64 v[250:251], v[104:105], s[4:5]
	;; [unrolled: 2-line block ×3, first 2 shown]
	v_add_f64 v[32:33], v[40:41], v[32:33]
	v_add_f64 v[34:35], v[42:43], v[34:35]
	v_mov_b32_e32 v99, v91
	v_add_f64 v[231:232], v[231:232], v[248:249]
	v_mul_f64 v[248:249], v[131:132], s[16:17]
	v_add_f64 v[235:236], v[235:236], v[250:251]
	v_mul_f64 v[250:251], v[133:134], s[20:21]
	v_add_f64 v[221:222], v[252:253], -v[221:222]
	v_mul_f64 v[252:253], v[100:101], s[4:5]
	v_add_f64 v[24:25], v[24:25], v[32:33]
	v_add_f64 v[26:27], v[26:27], v[34:35]
	v_add_f64 v[231:232], v[22:23], v[231:232]
	v_add_f64 v[233:234], v[233:234], v[248:249]
	v_mul_f64 v[248:249], v[113:114], s[16:17]
	v_add_f64 v[237:238], v[250:251], -v[237:238]
	v_mul_f64 v[250:251], v[117:118], s[16:17]
	v_add_f64 v[227:228], v[252:253], -v[227:228]
	v_add_f64 v[221:222], v[20:21], v[221:222]
	v_mul_f64 v[252:253], v[92:93], s[4:5]
	v_add_f64 v[231:232], v[235:236], v[231:232]
	v_mul_f64 v[235:236], v[121:122], s[8:9]
	v_add_f64 v[229:230], v[248:249], -v[229:230]
	v_mul_f64 v[248:249], v[104:105], s[10:11]
	v_add_f64 v[209:210], v[209:210], v[250:251]
	v_mul_f64 v[250:251], v[117:118], s[4:5]
	v_add_f64 v[221:222], v[227:228], v[221:222]
	;; [unrolled: 2-line block ×3, first 2 shown]
	v_add_f64 v[225:226], v[235:236], -v[225:226]
	v_mul_f64 v[235:236], v[131:132], s[8:9]
	v_add_f64 v[211:212], v[211:212], v[248:249]
	v_add_f64 v[209:210], v[22:23], v[209:210]
	v_mul_f64 v[248:249], v[92:93], s[10:11]
	v_add_f64 v[221:222], v[229:230], v[221:222]
	v_mul_f64 v[233:234], v[117:118], s[8:9]
	;; [unrolled: 2-line block ×5, first 2 shown]
	v_mul_f64 v[92:93], v[92:93], s[16:17]
	v_add_f64 v[221:222], v[225:226], v[221:222]
	v_mul_f64 v[229:230], v[117:118], s[10:11]
	v_mul_f64 v[117:118], v[117:118], s[20:21]
	v_add_f64 v[231:232], v[241:242], v[231:232]
	v_add_f64 v[223:224], v[235:236], -v[223:224]
	v_mul_f64 v[235:236], v[147:148], s[4:5]
	v_add_f64 v[211:212], v[217:218], v[211:212]
	v_add_f64 v[209:210], v[215:216], v[209:210]
	v_mul_f64 v[215:216], v[100:101], s[10:11]
	v_add_f64 v[92:93], v[92:93], -v[197:198]
	v_mul_f64 v[241:242], v[100:101], s[8:9]
	v_mul_f64 v[225:226], v[104:105], s[8:9]
	;; [unrolled: 1-line block ×3, first 2 shown]
	v_add_f64 v[213:214], v[213:214], v[235:236]
	v_mul_f64 v[235:236], v[167:168], s[20:21]
	v_add_f64 v[209:210], v[211:212], v[209:210]
	v_add_f64 v[201:202], v[215:216], -v[201:202]
	v_mul_f64 v[215:216], v[113:114], s[8:9]
	v_add_f64 v[92:93], v[20:21], v[92:93]
	v_add_f64 v[221:222], v[237:238], v[221:222]
	v_mul_f64 v[237:238], v[104:105], s[20:21]
	v_mul_f64 v[197:198], v[100:101], s[22:23]
	v_add_f64 v[219:220], v[219:220], v[235:236]
	v_mul_f64 v[235:236], v[159:160], s[20:21]
	v_add_f64 v[209:210], v[213:214], v[209:210]
	v_mul_f64 v[213:214], v[121:122], s[22:23]
	v_add_f64 v[205:206], v[215:216], -v[205:206]
	v_add_f64 v[92:93], v[201:202], v[92:93]
	v_mul_f64 v[211:212], v[104:105], s[22:23]
	v_mul_f64 v[100:101], v[100:101], s[16:17]
	;; [unrolled: 1-line block ×3, first 2 shown]
	v_add_f64 v[207:208], v[235:236], -v[207:208]
	v_mul_f64 v[235:236], v[133:134], s[4:5]
	v_add_f64 v[199:200], v[213:214], -v[199:200]
	v_add_f64 v[173:174], v[239:240], -v[173:174]
	v_add_f64 v[92:93], v[205:206], v[92:93]
	v_mul_f64 v[215:216], v[113:114], s[10:11]
	v_add_f64 v[117:118], v[183:184], v[117:118]
	v_mul_f64 v[183:184], v[113:114], s[22:23]
	v_mul_f64 v[205:206], v[131:132], s[4:5]
	v_add_f64 v[203:204], v[235:236], -v[203:204]
	v_add_f64 v[104:105], v[185:186], v[104:105]
	v_mul_f64 v[185:186], v[113:114], s[20:21]
	v_add_f64 v[92:93], v[199:200], v[92:93]
	v_mul_f64 v[113:114], v[113:114], s[4:5]
	v_mul_f64 v[199:200], v[121:122], s[16:17]
	;; [unrolled: 1-line block ×3, first 2 shown]
	v_add_f64 v[187:188], v[187:188], v[205:206]
	v_mul_f64 v[205:206], v[121:122], s[20:21]
	v_mul_f64 v[121:122], v[121:122], s[10:11]
	v_add_f64 v[169:170], v[169:170], v[229:230]
	v_add_f64 v[203:204], v[203:204], v[92:93]
	v_add_f64 v[92:93], v[100:101], -v[175:176]
	v_add_f64 v[100:101], v[20:21], v[173:174]
	v_add_f64 v[113:114], v[113:114], -v[177:178]
	v_mul_f64 v[201:202], v[131:132], s[10:11]
	v_mul_f64 v[213:214], v[131:132], s[22:23]
	v_add_f64 v[121:122], v[121:122], -v[179:180]
	v_add_f64 v[117:118], v[22:23], v[117:118]
	v_mul_f64 v[131:132], v[131:132], s[20:21]
	v_mul_f64 v[235:236], v[141:142], s[10:11]
	v_add_f64 v[92:93], v[92:93], v[100:101]
	v_add_f64 v[169:170], v[22:23], v[169:170]
	v_mul_f64 v[173:174], v[147:148], s[16:17]
	v_mul_f64 v[177:178], v[147:148], s[10:11]
	v_add_f64 v[143:144], v[143:144], v[233:234]
	v_add_f64 v[104:105], v[104:105], v[117:118]
	v_mul_f64 v[117:118], v[141:142], s[20:21]
	v_add_f64 v[189:190], v[189:190], v[235:236]
	v_add_f64 v[113:114], v[113:114], v[92:93]
	v_mul_f64 v[235:236], v[141:142], s[16:17]
	v_mul_f64 v[141:142], v[141:142], s[4:5]
	v_add_f64 v[131:132], v[153:154], v[131:132]
	v_add_f64 v[119:120], v[119:120], v[237:238]
	;; [unrolled: 1-line block ×3, first 2 shown]
	v_mul_f64 v[187:188], v[147:148], s[22:23]
	v_mul_f64 v[147:148], v[147:148], s[8:9]
	v_add_f64 v[113:114], v[121:122], v[113:114]
	v_add_f64 v[121:122], v[171:172], v[211:212]
	;; [unrolled: 1-line block ×3, first 2 shown]
	v_add_f64 v[42:43], v[197:198], -v[145:146]
	v_add_f64 v[125:126], v[125:126], v[213:214]
	v_add_f64 v[104:105], v[189:190], v[104:105]
	;; [unrolled: 1-line block ×4, first 2 shown]
	v_mul_f64 v[189:190], v[133:134], s[10:11]
	v_add_f64 v[121:122], v[121:122], v[169:170]
	v_mul_f64 v[193:194], v[133:134], s[8:9]
	v_mul_f64 v[133:134], v[133:134], s[22:23]
	v_add_f64 v[26:27], v[30:31], v[26:27]
	v_add_f64 v[24:25], v[28:29], v[24:25]
	v_add_f64 v[34:35], v[185:186], -v[149:150]
	v_mov_b32_e32 v98, v90
	v_mov_b32_e32 v91, v87
	v_add_f64 v[121:122], v[131:132], v[121:122]
	v_mov_b32_e32 v90, v86
	v_add_f64 v[133:134], v[133:134], -v[181:182]
	v_mov_b32_e32 v87, v83
	v_mov_b32_e32 v86, v82
	;; [unrolled: 1-line block ×5, first 2 shown]
	v_add_f64 v[40:41], v[40:41], v[121:122]
	v_add_f64 v[121:122], v[135:136], v[235:236]
	;; [unrolled: 1-line block ×3, first 2 shown]
	v_add_f64 v[133:134], v[248:249], -v[137:138]
	v_add_f64 v[137:138], v[22:23], v[143:144]
	v_add_f64 v[26:27], v[50:51], v[26:27]
	;; [unrolled: 1-line block ×3, first 2 shown]
	v_mov_b32_e32 v78, v76
	v_add_f64 v[32:33], v[32:33], v[40:41]
	buffer_load_dword v40, off, s[48:51], 0 offset:8 ; 4-byte Folded Reload
	buffer_load_dword v41, off, s[48:51], 0 offset:12 ; 4-byte Folded Reload
	v_mul_f64 v[76:77], v[167:168], s[4:5]
	v_add_f64 v[133:134], v[20:21], v[133:134]
	v_add_f64 v[119:120], v[119:120], v[137:138]
	v_add_f64 v[30:31], v[239:240], -v[151:152]
	v_add_f64 v[26:27], v[54:55], v[26:27]
	v_add_f64 v[24:25], v[52:53], v[24:25]
	v_add_f64 v[52:53], v[227:228], -v[106:107]
	v_add_f64 v[54:55], v[217:218], -v[108:109]
	v_mul_f64 v[187:188], v[167:168], s[8:9]
	v_add_f64 v[42:43], v[42:43], v[133:134]
	v_add_f64 v[119:120], v[125:126], v[119:120]
	;; [unrolled: 1-line block ×5, first 2 shown]
	v_add_f64 v[38:39], v[183:184], -v[110:111]
	v_mul_f64 v[175:176], v[167:168], s[22:23]
	v_mul_f64 v[167:168], v[167:168], s[16:17]
	v_add_f64 v[34:35], v[34:35], v[42:43]
	v_add_f64 v[42:43], v[121:122], v[119:120]
	;; [unrolled: 1-line block ×6, first 2 shown]
	v_add_f64 v[44:45], v[199:200], -v[115:116]
	v_mul_f64 v[195:196], v[159:160], s[22:23]
	v_add_f64 v[30:31], v[30:31], v[34:35]
	v_add_f64 v[34:35], v[80:81], v[76:77]
	;; [unrolled: 1-line block ×6, first 2 shown]
	v_mul_f64 v[179:180], v[159:160], s[4:5]
	v_mul_f64 v[229:230], v[159:160], s[16:17]
	v_add_f64 v[50:51], v[193:194], -v[157:158]
	v_mul_f64 v[159:160], v[159:160], s[8:9]
	v_add_f64 v[22:23], v[22:23], v[80:81]
	v_add_f64 v[28:29], v[165:166], v[167:168]
	;; [unrolled: 1-line block ×5, first 2 shown]
	v_add_f64 v[48:49], v[229:230], -v[161:162]
	v_add_f64 v[100:101], v[219:220], v[209:210]
	v_add_f64 v[159:160], v[159:160], -v[191:192]
	v_add_f64 v[22:23], v[76:77], v[22:23]
	v_add_f64 v[92:93], v[243:244], v[231:232]
	;; [unrolled: 1-line block ×4, first 2 shown]
	s_waitcnt vmcnt(0)
	v_add_f64 v[40:41], v[40:41], v[177:178]
	v_add_f64 v[40:41], v[40:41], v[42:43]
	v_add_f64 v[42:43], v[252:253], -v[78:79]
	v_add_f64 v[78:79], v[241:242], -v[82:83]
	v_add_f64 v[26:27], v[34:35], v[40:41]
	v_add_f64 v[36:37], v[20:21], v[42:43]
	;; [unrolled: 1-line block ×4, first 2 shown]
	v_add_f64 v[52:53], v[215:216], -v[86:87]
	v_add_f64 v[34:35], v[70:71], v[56:57]
	v_add_f64 v[36:37], v[78:79], v[36:37]
	;; [unrolled: 1-line block ×4, first 2 shown]
	v_add_f64 v[42:43], v[205:206], -v[90:91]
	v_add_f64 v[54:55], v[195:196], -v[139:140]
	v_add_f64 v[90:91], v[223:224], v[221:222]
	v_add_f64 v[36:37], v[52:53], v[36:37]
	;; [unrolled: 1-line block ×5, first 2 shown]
	v_add_f64 v[46:47], v[254:255], -v[98:99]
	v_add_f64 v[38:39], v[189:190], -v[123:124]
	v_add_f64 v[98:99], v[207:208], v[203:204]
	v_add_f64 v[36:37], v[42:43], v[36:37]
	;; [unrolled: 1-line block ×5, first 2 shown]
	v_add_f64 v[42:43], v[179:180], -v[129:130]
	v_add_f64 v[22:23], v[28:29], v[32:33]
	v_add_f64 v[32:33], v[68:69], v[24:25]
	;; [unrolled: 1-line block ×10, first 2 shown]
	v_lshlrev_b32_e32 v36, 4, v246
	ds_write_b128 v36, v[32:35]
	ds_write_b128 v36, v[28:31] offset:16
	ds_write_b128 v36, v[24:27] offset:32
	;; [unrolled: 1-line block ×12, first 2 shown]
.LBB0_7:
	s_or_b64 exec, exec, s[18:19]
	s_load_dwordx4 s[8:11], s[2:3], 0x0
	s_movk_i32 s2, 0x4f
	v_mul_lo_u16_sdwa v20, v112, s2 dst_sel:DWORD dst_unused:UNUSED_PAD src0_sel:BYTE_0 src1_sel:DWORD
	v_lshrrev_b16_e32 v76, 10, v20
	v_mul_lo_u16_e32 v20, 13, v76
	v_sub_u16_e32 v20, v112, v20
	v_and_b32_e32 v100, 0xff, v20
	v_mul_u32_u24_e32 v20, 6, v100
	v_lshlrev_b32_e32 v44, 4, v20
	s_waitcnt lgkmcnt(0)
	; wave barrier
	s_waitcnt lgkmcnt(0)
	global_load_dwordx4 v[32:35], v44, s[14:15]
	global_load_dwordx4 v[28:31], v44, s[14:15] offset:16
	global_load_dwordx4 v[24:27], v44, s[14:15] offset:32
	;; [unrolled: 1-line block ×5, first 2 shown]
	ds_read_b128 v[44:47], v245
	ds_read_b128 v[48:51], v245 offset:832
	ds_read_b128 v[52:55], v245 offset:1664
	;; [unrolled: 1-line block ×6, first 2 shown]
	v_mul_u32_u24_e32 v101, 0x5b, v76
	s_mov_b32 s4, 0x37e14327
	s_mov_b32 s2, 0x36b3c0b5
	;; [unrolled: 1-line block ×16, first 2 shown]
	v_add_lshl_u32 v177, v101, v100, 4
	s_waitcnt lgkmcnt(0)
	; wave barrier
	s_waitcnt vmcnt(5) lgkmcnt(0)
	v_mul_f64 v[76:77], v[50:51], v[34:35]
	v_mul_f64 v[78:79], v[48:49], v[34:35]
	s_waitcnt vmcnt(4)
	v_mul_f64 v[80:81], v[54:55], v[30:31]
	v_mul_f64 v[82:83], v[52:53], v[30:31]
	s_waitcnt vmcnt(1)
	v_mul_f64 v[92:93], v[70:71], v[38:39]
	v_mul_f64 v[94:95], v[68:69], v[38:39]
	s_waitcnt vmcnt(0)
	v_mul_f64 v[96:97], v[66:67], v[42:43]
	v_mul_f64 v[98:99], v[64:65], v[42:43]
	;; [unrolled: 1-line block ×6, first 2 shown]
	v_fma_f64 v[48:49], v[48:49], v[32:33], -v[76:77]
	v_fma_f64 v[50:51], v[50:51], v[32:33], v[78:79]
	v_fma_f64 v[52:53], v[52:53], v[28:29], -v[80:81]
	v_fma_f64 v[54:55], v[54:55], v[28:29], v[82:83]
	v_fma_f64 v[68:69], v[68:69], v[36:37], -v[92:93]
	v_fma_f64 v[70:71], v[70:71], v[36:37], v[94:95]
	v_fma_f64 v[64:65], v[64:65], v[40:41], -v[96:97]
	v_fma_f64 v[66:67], v[66:67], v[40:41], v[98:99]
	v_fma_f64 v[56:57], v[56:57], v[24:25], -v[84:85]
	v_fma_f64 v[58:59], v[58:59], v[24:25], v[86:87]
	v_fma_f64 v[60:61], v[60:61], v[20:21], -v[88:89]
	v_fma_f64 v[62:63], v[62:63], v[20:21], v[90:91]
	v_add_f64 v[76:77], v[48:49], v[68:69]
	v_add_f64 v[78:79], v[50:51], v[70:71]
	v_add_f64 v[48:49], v[48:49], -v[68:69]
	v_add_f64 v[50:51], v[50:51], -v[70:71]
	v_add_f64 v[68:69], v[52:53], v[64:65]
	v_add_f64 v[70:71], v[54:55], v[66:67]
	v_add_f64 v[52:53], v[52:53], -v[64:65]
	v_add_f64 v[54:55], v[54:55], -v[66:67]
	;; [unrolled: 4-line block ×4, first 2 shown]
	v_add_f64 v[76:77], v[76:77], -v[64:65]
	v_add_f64 v[78:79], v[78:79], -v[66:67]
	v_add_f64 v[68:69], v[64:65], -v[68:69]
	v_add_f64 v[70:71], v[66:67], -v[70:71]
	v_add_f64 v[84:85], v[56:57], v[52:53]
	v_add_f64 v[86:87], v[58:59], v[54:55]
	v_add_f64 v[88:89], v[56:57], -v[52:53]
	v_add_f64 v[90:91], v[58:59], -v[54:55]
	v_add_f64 v[60:61], v[64:65], v[60:61]
	v_add_f64 v[62:63], v[66:67], v[62:63]
	v_add_f64 v[52:53], v[52:53], -v[48:49]
	v_add_f64 v[54:55], v[54:55], -v[50:51]
	v_add_f64 v[56:57], v[48:49], -v[56:57]
	v_add_f64 v[58:59], v[50:51], -v[58:59]
	v_add_f64 v[48:49], v[84:85], v[48:49]
	v_add_f64 v[50:51], v[86:87], v[50:51]
	v_mul_f64 v[64:65], v[76:77], s[4:5]
	v_mul_f64 v[66:67], v[78:79], s[4:5]
	;; [unrolled: 1-line block ×6, first 2 shown]
	v_add_f64 v[44:45], v[44:45], v[60:61]
	v_add_f64 v[46:47], v[46:47], v[62:63]
	v_mul_f64 v[88:89], v[52:53], s[16:17]
	v_mul_f64 v[90:91], v[54:55], s[16:17]
	v_fma_f64 v[68:69], v[68:69], s[2:3], v[64:65]
	v_fma_f64 v[70:71], v[70:71], s[2:3], v[66:67]
	v_fma_f64 v[76:77], v[80:81], s[22:23], -v[76:77]
	v_fma_f64 v[78:79], v[82:83], s[22:23], -v[78:79]
	s_mov_b32 s23, 0xbfe77f67
	v_fma_f64 v[92:93], v[56:57], s[24:25], v[84:85]
	v_fma_f64 v[94:95], v[58:59], s[24:25], v[86:87]
	s_mov_b32 s25, 0xbfd5d0dc
	v_fma_f64 v[60:61], v[60:61], s[18:19], v[44:45]
	v_fma_f64 v[62:63], v[62:63], s[18:19], v[46:47]
	v_fma_f64 v[64:65], v[80:81], s[22:23], -v[64:65]
	v_fma_f64 v[66:67], v[82:83], s[22:23], -v[66:67]
	;; [unrolled: 1-line block ×6, first 2 shown]
	v_fma_f64 v[86:87], v[48:49], s[26:27], v[92:93]
	v_fma_f64 v[84:85], v[50:51], s[26:27], v[94:95]
	v_add_f64 v[92:93], v[68:69], v[60:61]
	v_add_f64 v[94:95], v[70:71], v[62:63]
	v_fma_f64 v[88:89], v[48:49], s[26:27], v[56:57]
	v_fma_f64 v[90:91], v[50:51], s[26:27], v[58:59]
	v_add_f64 v[64:65], v[64:65], v[60:61]
	v_add_f64 v[66:67], v[66:67], v[62:63]
	;; [unrolled: 4-line block ×3, first 2 shown]
	v_add_f64 v[48:49], v[84:85], v[92:93]
	v_add_f64 v[50:51], v[94:95], -v[86:87]
	v_add_f64 v[52:53], v[90:91], v[64:65]
	v_add_f64 v[54:55], v[66:67], -v[88:89]
	v_add_f64 v[84:85], v[92:93], -v[84:85]
	v_add_f64 v[86:87], v[86:87], v[94:95]
	v_add_f64 v[56:57], v[60:61], -v[82:83]
	v_add_f64 v[58:59], v[80:81], v[62:63]
	v_add_f64 v[68:69], v[82:83], v[60:61]
	v_add_f64 v[70:71], v[62:63], -v[80:81]
	v_add_f64 v[80:81], v[64:65], -v[90:91]
	v_add_f64 v[82:83], v[88:89], v[66:67]
	ds_write_b128 v177, v[44:47]
	ds_write_b128 v177, v[48:51] offset:208
	ds_write_b128 v177, v[52:55] offset:416
	;; [unrolled: 1-line block ×6, first 2 shown]
	s_waitcnt lgkmcnt(0)
	; wave barrier
	s_waitcnt lgkmcnt(0)
	ds_read_b128 v[76:79], v245
	ds_read_b128 v[96:99], v245 offset:1456
	ds_read_b128 v[92:95], v245 offset:2912
	;; [unrolled: 1-line block ×3, first 2 shown]
	v_cmp_gt_u16_e64 s[2:3], 39, v112
	s_and_saveexec_b64 s[4:5], s[2:3]
	s_cbranch_execz .LBB0_9
; %bb.8:
	ds_read_b128 v[68:71], v245 offset:832
	ds_read_b128 v[80:83], v245 offset:2288
	ds_read_b128 v[84:87], v245 offset:3744
	ds_read_b128 v[72:75], v245 offset:5200
.LBB0_9:
	s_or_b64 exec, exec, s[4:5]
	v_mad_u64_u32 v[44:45], s[4:5], v112, 48, s[14:15]
	v_add_u32_e32 v46, 52, v112
	global_load_dwordx4 v[56:59], v[44:45], off offset:1280
	global_load_dwordx4 v[60:63], v[44:45], off offset:1264
	;; [unrolled: 1-line block ×3, first 2 shown]
	v_subrev_u32_e32 v44, 39, v112
	v_cndmask_b32_e64 v44, v44, v46, s[2:3]
	v_mul_hi_i32_i24_e32 v45, 48, v44
	v_mul_i32_i24_e32 v44, 48, v44
	v_mov_b32_e32 v46, s15
	v_add_co_u32_e32 v100, vcc, s14, v44
	v_addc_co_u32_e32 v101, vcc, v46, v45, vcc
	global_load_dwordx4 v[52:55], v[100:101], off offset:1248
	global_load_dwordx4 v[48:51], v[100:101], off offset:1264
	;; [unrolled: 1-line block ×3, first 2 shown]
	s_waitcnt vmcnt(5) lgkmcnt(0)
	v_mul_f64 v[108:109], v[90:91], v[58:59]
	s_waitcnt vmcnt(4)
	v_mul_f64 v[104:105], v[94:95], v[62:63]
	s_waitcnt vmcnt(3)
	v_mul_f64 v[100:101], v[98:99], v[66:67]
	v_mul_f64 v[102:103], v[96:97], v[66:67]
	;; [unrolled: 1-line block ×4, first 2 shown]
	v_fma_f64 v[88:89], v[88:89], v[56:57], -v[108:109]
	v_fma_f64 v[92:93], v[92:93], v[60:61], -v[104:105]
	s_waitcnt vmcnt(2)
	v_mul_f64 v[113:114], v[82:83], v[54:55]
	v_mul_f64 v[115:116], v[80:81], v[54:55]
	s_waitcnt vmcnt(1)
	v_mul_f64 v[117:118], v[86:87], v[50:51]
	v_mul_f64 v[119:120], v[84:85], v[50:51]
	;; [unrolled: 3-line block ×3, first 2 shown]
	v_fma_f64 v[96:97], v[96:97], v[64:65], -v[100:101]
	v_fma_f64 v[98:99], v[98:99], v[64:65], v[102:103]
	v_fma_f64 v[94:95], v[94:95], v[60:61], v[106:107]
	;; [unrolled: 1-line block ×3, first 2 shown]
	v_fma_f64 v[80:81], v[80:81], v[52:53], -v[113:114]
	v_fma_f64 v[82:83], v[82:83], v[52:53], v[115:116]
	v_fma_f64 v[84:85], v[84:85], v[48:49], -v[117:118]
	v_fma_f64 v[86:87], v[86:87], v[48:49], v[119:120]
	;; [unrolled: 2-line block ×3, first 2 shown]
	v_add_f64 v[92:93], v[76:77], -v[92:93]
	v_add_f64 v[94:95], v[78:79], -v[94:95]
	;; [unrolled: 1-line block ×8, first 2 shown]
	v_fma_f64 v[104:105], v[76:77], 2.0, -v[92:93]
	v_fma_f64 v[106:107], v[78:79], 2.0, -v[94:95]
	;; [unrolled: 1-line block ×8, first 2 shown]
	v_add_f64 v[72:73], v[92:93], -v[90:91]
	v_add_f64 v[74:75], v[94:95], v[88:89]
	v_add_f64 v[84:85], v[100:101], -v[84:85]
	v_add_f64 v[86:87], v[102:103], v[86:87]
	v_add_f64 v[76:77], v[104:105], -v[76:77]
	v_add_f64 v[78:79], v[106:107], -v[78:79]
	;; [unrolled: 1-line block ×4, first 2 shown]
	v_fma_f64 v[80:81], v[92:93], 2.0, -v[72:73]
	v_fma_f64 v[82:83], v[94:95], 2.0, -v[74:75]
	v_fma_f64 v[92:93], v[100:101], 2.0, -v[84:85]
	v_fma_f64 v[94:95], v[102:103], 2.0, -v[86:87]
	v_fma_f64 v[68:69], v[104:105], 2.0, -v[76:77]
	v_fma_f64 v[70:71], v[106:107], 2.0, -v[78:79]
	v_fma_f64 v[96:97], v[96:97], 2.0, -v[88:89]
	v_fma_f64 v[98:99], v[98:99], 2.0, -v[90:91]
	ds_write_b128 v245, v[80:83] offset:1456
	ds_write_b128 v245, v[76:79] offset:2912
	ds_write_b128 v245, v[68:71]
	ds_write_b128 v245, v[72:75] offset:4368
	s_and_saveexec_b64 s[4:5], s[2:3]
	s_cbranch_execz .LBB0_11
; %bb.10:
	ds_write_b128 v245, v[96:99] offset:832
	ds_write_b128 v245, v[92:95] offset:2288
	;; [unrolled: 1-line block ×4, first 2 shown]
.LBB0_11:
	s_or_b64 exec, exec, s[4:5]
	s_waitcnt lgkmcnt(0)
	; wave barrier
	s_waitcnt lgkmcnt(0)
	s_and_saveexec_b64 s[14:15], s[0:1]
	s_cbranch_execz .LBB0_13
; %bb.12:
	v_mov_b32_e32 v100, s13
	v_add_co_u32_e32 v133, vcc, s12, v245
	v_addc_co_u32_e32 v146, vcc, 0, v100, vcc
	v_add_co_u32_e32 v149, vcc, 0x16c0, v133
	v_addc_co_u32_e32 v150, vcc, 0, v146, vcc
	global_load_dwordx4 v[100:103], v[149:150], off offset:448
	global_load_dwordx4 v[104:107], v[149:150], off offset:896
	global_load_dwordx4 v[108:111], v[149:150], off offset:1344
	s_movk_i32 s4, 0x2000
	v_add_co_u32_e64 v141, s[4:5], s4, v133
	v_add_co_u32_e32 v145, vcc, 0x1000, v133
	v_addc_co_u32_e64 v142, s[4:5], 0, v146, s[4:5]
	global_load_dwordx4 v[113:116], v[149:150], off offset:1792
	global_load_dwordx4 v[117:120], v[149:150], off offset:2240
	;; [unrolled: 1-line block ×7, first 2 shown]
	s_nop 0
	global_load_dwordx4 v[141:144], v[141:142], off offset:3008
	v_addc_co_u32_e32 v146, vcc, 0, v146, vcc
	global_load_dwordx4 v[145:148], v[145:146], off offset:1728
	s_nop 0
	global_load_dwordx4 v[149:152], v[149:150], off offset:4032
	ds_read_b128 v[153:156], v245
	ds_read_b128 v[157:160], v245 offset:448
	ds_read_b128 v[161:164], v245 offset:896
	;; [unrolled: 1-line block ×12, first 2 shown]
	s_waitcnt vmcnt(12) lgkmcnt(11)
	v_mul_f64 v[206:207], v[159:160], v[102:103]
	v_mul_f64 v[102:103], v[157:158], v[102:103]
	s_waitcnt vmcnt(11) lgkmcnt(10)
	v_mul_f64 v[208:209], v[163:164], v[106:107]
	v_mul_f64 v[106:107], v[161:162], v[106:107]
	;; [unrolled: 3-line block ×9, first 2 shown]
	s_waitcnt vmcnt(1)
	v_mul_f64 v[143:144], v[155:156], v[147:148]
	v_mul_f64 v[147:148], v[153:154], v[147:148]
	;; [unrolled: 1-line block ×6, first 2 shown]
	s_waitcnt vmcnt(0)
	v_mul_f64 v[230:231], v[192:193], v[151:152]
	v_mul_f64 v[151:152], v[190:191], v[151:152]
	v_fma_f64 v[157:158], v[157:158], v[100:101], -v[206:207]
	v_fma_f64 v[159:160], v[159:160], v[100:101], v[102:103]
	v_fma_f64 v[100:101], v[161:162], v[104:105], -v[208:209]
	v_fma_f64 v[102:103], v[163:164], v[104:105], v[106:107]
	;; [unrolled: 2-line block ×12, first 2 shown]
	ds_write_b128 v245, v[157:160] offset:448
	ds_write_b128 v245, v[100:103] offset:896
	;; [unrolled: 1-line block ×4, first 2 shown]
	ds_write_b128 v245, v[143:146]
	v_fma_f64 v[100:101], v[202:203], v[141:142], -v[226:227]
	v_fma_f64 v[102:103], v[204:205], v[141:142], v[228:229]
	ds_write_b128 v245, v[113:116] offset:2240
	ds_write_b128 v245, v[117:120] offset:2688
	;; [unrolled: 1-line block ×8, first 2 shown]
.LBB0_13:
	s_or_b64 exec, exec, s[14:15]
	s_waitcnt lgkmcnt(0)
	; wave barrier
	s_waitcnt lgkmcnt(0)
	s_and_saveexec_b64 s[4:5], s[0:1]
	s_cbranch_execz .LBB0_15
; %bb.14:
	ds_read_b128 v[68:71], v245
	ds_read_b128 v[80:83], v245 offset:448
	ds_read_b128 v[76:79], v245 offset:896
	;; [unrolled: 1-line block ×12, first 2 shown]
.LBB0_15:
	s_or_b64 exec, exec, s[4:5]
	s_waitcnt lgkmcnt(0)
	v_add_f64 v[115:116], v[2:3], v[82:83]
	s_mov_b32 s4, 0x93053d00
	s_mov_b32 s5, 0xbfef11f4
	v_add_f64 v[117:118], v[82:83], -v[2:3]
	v_add_f64 v[151:152], v[80:81], -v[0:1]
	v_add_f64 v[121:122], v[6:7], v[78:79]
	s_mov_b32 s14, 0x4bc48dbf
	s_mov_b32 s20, 0xe00740e9
	v_mul_f64 v[163:164], v[115:116], s[4:5]
	s_mov_b32 s15, 0xbfcea1e5
	s_mov_b32 s21, 0x3fec55a7
	v_add_f64 v[113:114], v[0:1], v[80:81]
	v_mul_f64 v[106:107], v[117:118], s[14:15]
	v_add_f64 v[123:124], v[78:79], -v[6:7]
	v_add_f64 v[157:158], v[76:77], -v[4:5]
	v_mul_f64 v[161:162], v[121:122], s[20:21]
	v_fma_f64 v[102:103], v[151:152], s[14:15], v[163:164]
	v_add_f64 v[127:128], v[74:75], v[10:11]
	s_mov_b32 s16, 0xd0032e0c
	s_mov_b32 s23, 0x3fddbe06
	;; [unrolled: 1-line block ×4, first 2 shown]
	v_add_f64 v[119:120], v[4:5], v[76:77]
	v_fma_f64 v[100:101], v[113:114], s[4:5], -v[106:107]
	v_mul_f64 v[104:105], v[123:124], s[22:23]
	v_add_f64 v[102:103], v[70:71], v[102:103]
	v_fma_f64 v[131:132], v[157:158], s[22:23], v[161:162]
	v_add_f64 v[129:130], v[74:75], -v[10:11]
	v_add_f64 v[145:146], v[72:73], -v[8:9]
	v_mul_f64 v[165:166], v[127:128], s[16:17]
	v_add_f64 v[133:134], v[98:99], v[14:15]
	s_mov_b32 s24, 0x24c2f84
	s_mov_b32 s26, 0x1ea71119
	;; [unrolled: 1-line block ×4, first 2 shown]
	v_fma_f64 v[110:111], v[119:120], s[20:21], -v[104:105]
	v_add_f64 v[100:101], v[68:69], v[100:101]
	v_add_f64 v[125:126], v[72:73], v[8:9]
	v_mul_f64 v[108:109], v[129:130], s[24:25]
	v_add_f64 v[102:103], v[131:132], v[102:103]
	v_fma_f64 v[137:138], v[145:146], s[24:25], v[165:166]
	v_add_f64 v[139:140], v[98:99], -v[14:15]
	v_add_f64 v[149:150], v[96:97], -v[12:13]
	v_mul_f64 v[167:168], v[133:134], s[26:27]
	s_mov_b32 s42, 0x42a4c3d2
	s_mov_b32 s43, 0x3fea55e2
	v_add_f64 v[100:101], v[110:111], v[100:101]
	v_fma_f64 v[135:136], v[125:126], s[16:17], -v[108:109]
	v_add_f64 v[131:132], v[96:97], v[12:13]
	v_mul_f64 v[110:111], v[139:140], s[42:43]
	v_add_f64 v[102:103], v[137:138], v[102:103]
	v_fma_f64 v[143:144], v[149:150], s[42:43], v[167:168]
	v_add_f64 v[147:148], v[94:95], -v[18:19]
	v_add_f64 v[137:138], v[18:19], v[94:95]
	s_mov_b32 s28, 0xb2365da1
	s_mov_b32 s30, 0x2ef20147
	;; [unrolled: 1-line block ×4, first 2 shown]
	v_add_f64 v[100:101], v[135:136], v[100:101]
	v_fma_f64 v[141:142], v[131:132], s[26:27], -v[110:111]
	v_add_f64 v[135:136], v[16:17], v[92:93]
	v_add_f64 v[153:154], v[92:93], -v[16:17]
	v_mul_f64 v[169:170], v[147:148], s[30:31]
	v_mul_f64 v[171:172], v[137:138], s[28:29]
	v_add_f64 v[102:103], v[143:144], v[102:103]
	v_add_f64 v[155:156], v[90:91], -v[86:87]
	v_add_f64 v[143:144], v[86:87], v[90:91]
	s_mov_b32 s34, 0xebaa3ed8
	s_mov_b32 s38, 0x66966769
	s_mov_b32 s35, 0x3fbedb7d
	s_mov_b32 s39, 0x3fefc445
	v_add_f64 v[100:101], v[141:142], v[100:101]
	v_fma_f64 v[178:179], v[135:136], s[28:29], -v[169:170]
	v_fma_f64 v[180:181], v[153:154], s[30:31], v[171:172]
	v_add_f64 v[141:142], v[84:85], v[88:89]
	v_add_f64 v[159:160], v[88:89], -v[84:85]
	v_mul_f64 v[173:174], v[155:156], s[38:39]
	v_mul_f64 v[175:176], v[143:144], s[34:35]
	s_waitcnt lgkmcnt(0)
	; wave barrier
	v_add_f64 v[100:101], v[178:179], v[100:101]
	v_add_f64 v[102:103], v[180:181], v[102:103]
	v_fma_f64 v[178:179], v[141:142], s[34:35], -v[173:174]
	v_fma_f64 v[180:181], v[159:160], s[38:39], v[175:176]
	v_add_f64 v[100:101], v[178:179], v[100:101]
	v_add_f64 v[102:103], v[180:181], v[102:103]
	s_and_saveexec_b64 s[18:19], s[0:1]
	s_cbranch_execz .LBB0_17
; %bb.16:
	v_mul_f64 v[178:179], v[151:152], s[14:15]
	v_mul_f64 v[184:185], v[157:158], s[22:23]
	;; [unrolled: 1-line block ×8, first 2 shown]
	v_add_f64 v[163:164], v[163:164], -v[178:179]
	v_add_f64 v[161:162], v[161:162], -v[184:185]
	v_add_f64 v[106:107], v[180:181], v[106:107]
	v_add_f64 v[165:166], v[165:166], -v[188:189]
	v_mul_f64 v[184:185], v[157:158], s[38:39]
	v_add_f64 v[167:168], v[167:168], -v[192:193]
	v_add_f64 v[104:105], v[182:183], v[104:105]
	v_fma_f64 v[182:183], v[115:116], s[16:17], v[202:203]
	v_add_f64 v[163:164], v[70:71], v[163:164]
	s_mov_b32 s37, 0xbfea55e2
	v_add_f64 v[106:107], v[68:69], v[106:107]
	s_mov_b32 s36, s42
	v_mul_f64 v[178:179], v[135:136], s[28:29]
	v_mul_f64 v[194:195], v[153:154], s[30:31]
	;; [unrolled: 1-line block ×4, first 2 shown]
	v_add_f64 v[161:162], v[161:162], v[163:164]
	v_add_f64 v[108:109], v[186:187], v[108:109]
	;; [unrolled: 1-line block ×3, first 2 shown]
	s_mov_b32 s47, 0x3fcea1e5
	s_mov_b32 s46, s14
	v_mul_f64 v[190:191], v[131:132], s[26:27]
	v_mul_f64 v[163:164], v[123:124], s[38:39]
	;; [unrolled: 1-line block ×3, first 2 shown]
	v_add_f64 v[161:162], v[165:166], v[161:162]
	v_add_f64 v[171:172], v[171:172], -v[194:195]
	v_add_f64 v[169:170], v[178:179], v[169:170]
	v_fma_f64 v[178:179], v[113:114], s[16:17], -v[180:181]
	v_add_f64 v[104:105], v[108:109], v[104:105]
	v_fma_f64 v[108:109], v[127:128], s[26:27], v[204:205]
	v_mul_f64 v[198:199], v[159:160], s[38:39]
	v_mul_f64 v[200:201], v[153:154], s[22:23]
	v_add_f64 v[106:107], v[167:168], v[161:162]
	v_fma_f64 v[161:162], v[121:122], s[34:35], v[184:185]
	v_add_f64 v[167:168], v[70:71], v[182:183]
	v_add_f64 v[110:111], v[190:191], v[110:111]
	v_fma_f64 v[182:183], v[115:116], s[16:17], -v[202:203]
	v_add_f64 v[178:179], v[68:69], v[178:179]
	v_mul_f64 v[165:166], v[129:130], s[36:37]
	v_add_f64 v[175:176], v[175:176], -v[198:199]
	v_add_f64 v[106:107], v[171:172], v[106:107]
	v_fma_f64 v[171:172], v[121:122], s[34:35], -v[184:185]
	v_add_f64 v[161:162], v[161:162], v[167:168]
	v_fma_f64 v[167:168], v[119:120], s[34:35], -v[163:164]
	v_fma_f64 v[184:185], v[133:134], s[4:5], v[188:189]
	v_add_f64 v[104:105], v[110:111], v[104:105]
	v_add_f64 v[110:111], v[70:71], v[182:183]
	v_mul_f64 v[196:197], v[141:142], s[34:35]
	v_add_f64 v[106:107], v[175:176], v[106:107]
	v_mul_f64 v[175:176], v[139:140], s[46:47]
	v_add_f64 v[108:109], v[108:109], v[161:162]
	v_add_f64 v[167:168], v[167:168], v[178:179]
	v_fma_f64 v[178:179], v[137:138], s[20:21], v[200:201]
	v_fma_f64 v[182:183], v[125:126], s[26:27], -v[165:166]
	v_fma_f64 v[186:187], v[127:128], s[26:27], -v[204:205]
	v_add_f64 v[110:111], v[171:172], v[110:111]
	v_add_f64 v[173:174], v[196:197], v[173:174]
	v_mul_f64 v[161:162], v[159:160], s[30:31]
	v_add_f64 v[108:109], v[184:185], v[108:109]
	v_add_f64 v[104:105], v[169:170], v[104:105]
	v_fma_f64 v[171:172], v[131:132], s[4:5], -v[175:176]
	v_add_f64 v[167:168], v[182:183], v[167:168]
	v_fma_f64 v[184:185], v[133:134], s[4:5], -v[188:189]
	v_add_f64 v[110:111], v[186:187], v[110:111]
	v_fma_f64 v[163:164], v[119:120], s[34:35], v[163:164]
	v_mul_f64 v[169:170], v[147:148], s[22:23]
	v_add_f64 v[108:109], v[178:179], v[108:109]
	v_fma_f64 v[178:179], v[113:114], s[16:17], v[180:181]
	v_fma_f64 v[182:183], v[143:144], s[28:29], v[161:162]
	v_add_f64 v[167:168], v[171:172], v[167:168]
	v_add_f64 v[104:105], v[173:174], v[104:105]
	v_fma_f64 v[171:172], v[137:138], s[20:21], -v[200:201]
	v_add_f64 v[173:174], v[184:185], v[110:111]
	v_fma_f64 v[165:166], v[125:126], s[26:27], v[165:166]
	v_fma_f64 v[186:187], v[135:136], s[20:21], -v[169:170]
	v_add_f64 v[178:179], v[68:69], v[178:179]
	v_add_f64 v[110:111], v[182:183], v[108:109]
	v_mul_f64 v[182:183], v[151:152], s[30:31]
	v_fma_f64 v[175:176], v[131:132], s[4:5], v[175:176]
	s_mov_b32 s45, 0x3fe5384d
	v_add_f64 v[171:172], v[171:172], v[173:174]
	v_mul_f64 v[173:174], v[117:118], s[30:31]
	s_mov_b32 s44, s24
	v_add_f64 v[163:164], v[163:164], v[178:179]
	v_add_f64 v[167:168], v[186:187], v[167:168]
	v_mul_f64 v[178:179], v[157:158], s[44:45]
	v_fma_f64 v[184:185], v[115:116], s[28:29], v[182:183]
	v_mul_f64 v[186:187], v[123:124], s[44:45]
	v_mul_f64 v[188:189], v[145:146], s[22:23]
	;; [unrolled: 1-line block ×3, first 2 shown]
	s_mov_b32 s41, 0xbfefc445
	v_add_f64 v[163:164], v[165:166], v[163:164]
	v_fma_f64 v[165:166], v[113:114], s[28:29], -v[173:174]
	v_fma_f64 v[190:191], v[121:122], s[16:17], v[178:179]
	v_add_f64 v[184:185], v[70:71], v[184:185]
	v_fma_f64 v[194:195], v[119:120], s[16:17], -v[186:187]
	v_fma_f64 v[178:179], v[121:122], s[16:17], -v[178:179]
	s_mov_b32 s40, s38
	v_mul_f64 v[196:197], v[149:150], s[40:41]
	v_add_f64 v[163:164], v[175:176], v[163:164]
	v_fma_f64 v[175:176], v[115:116], s[28:29], -v[182:183]
	v_add_f64 v[165:166], v[68:69], v[165:166]
	v_fma_f64 v[198:199], v[127:128], s[20:21], v[188:189]
	v_add_f64 v[184:185], v[190:191], v[184:185]
	v_mul_f64 v[182:183], v[139:140], s[40:41]
	v_fma_f64 v[190:191], v[125:126], s[20:21], -v[192:193]
	v_fma_f64 v[188:189], v[127:128], s[20:21], -v[188:189]
	v_mul_f64 v[180:181], v[155:156], s[30:31]
	v_add_f64 v[175:176], v[70:71], v[175:176]
	v_add_f64 v[165:166], v[194:195], v[165:166]
	v_fma_f64 v[161:162], v[143:144], s[28:29], -v[161:162]
	v_fma_f64 v[169:170], v[135:136], s[20:21], v[169:170]
	v_mul_f64 v[194:195], v[153:154], s[46:47]
	v_fma_f64 v[200:201], v[133:134], s[34:35], v[196:197]
	v_add_f64 v[184:185], v[198:199], v[184:185]
	v_mul_f64 v[198:199], v[147:148], s[46:47]
	v_add_f64 v[175:176], v[178:179], v[175:176]
	v_fma_f64 v[202:203], v[131:132], s[34:35], -v[182:183]
	v_add_f64 v[165:166], v[190:191], v[165:166]
	v_fma_f64 v[196:197], v[133:134], s[34:35], -v[196:197]
	v_fma_f64 v[108:109], v[141:142], s[28:29], -v[180:181]
	v_mul_f64 v[190:191], v[159:160], s[42:43]
	v_fma_f64 v[204:205], v[137:138], s[4:5], v[194:195]
	v_add_f64 v[184:185], v[200:201], v[184:185]
	v_add_f64 v[175:176], v[188:189], v[175:176]
	v_mul_f64 v[178:179], v[155:156], s[42:43]
	v_fma_f64 v[200:201], v[135:136], s[4:5], -v[198:199]
	v_add_f64 v[165:166], v[202:203], v[165:166]
	v_fma_f64 v[180:181], v[141:142], s[28:29], v[180:181]
	v_add_f64 v[169:170], v[169:170], v[163:164]
	v_add_f64 v[163:164], v[161:162], v[171:172]
	v_fma_f64 v[171:172], v[113:114], s[28:29], v[173:174]
	v_fma_f64 v[173:174], v[137:138], s[4:5], -v[194:195]
	v_add_f64 v[175:176], v[196:197], v[175:176]
	v_fma_f64 v[202:203], v[143:144], s[26:27], v[190:191]
	v_add_f64 v[184:185], v[204:205], v[184:185]
	v_fma_f64 v[188:189], v[141:142], s[26:27], -v[178:179]
	v_add_f64 v[165:166], v[200:201], v[165:166]
	v_add_f64 v[161:162], v[180:181], v[169:170]
	v_fma_f64 v[169:170], v[119:120], s[16:17], v[186:187]
	v_mul_f64 v[180:181], v[151:152], s[40:41]
	v_add_f64 v[171:172], v[68:69], v[171:172]
	v_add_f64 v[173:174], v[173:174], v[175:176]
	v_fma_f64 v[175:176], v[131:132], s[34:35], v[182:183]
	v_mul_f64 v[182:183], v[117:118], s[40:41]
	v_add_f64 v[108:109], v[108:109], v[167:168]
	v_add_f64 v[167:168], v[202:203], v[184:185]
	;; [unrolled: 1-line block ×3, first 2 shown]
	v_fma_f64 v[184:185], v[143:144], s[26:27], -v[190:191]
	v_fma_f64 v[186:187], v[125:126], s[20:21], v[192:193]
	v_mul_f64 v[188:189], v[157:158], s[14:15]
	v_fma_f64 v[190:191], v[115:116], s[34:35], v[180:181]
	v_add_f64 v[169:170], v[169:170], v[171:172]
	v_mul_f64 v[192:193], v[123:124], s[14:15]
	v_fma_f64 v[171:172], v[113:114], s[34:35], -v[182:183]
	s_mov_b32 s43, 0x3fedeba7
	s_mov_b32 s42, s30
	v_mul_f64 v[194:195], v[145:146], s[42:43]
	v_fma_f64 v[196:197], v[121:122], s[4:5], v[188:189]
	v_add_f64 v[190:191], v[70:71], v[190:191]
	v_add_f64 v[169:170], v[186:187], v[169:170]
	v_fma_f64 v[186:187], v[135:136], s[4:5], v[198:199]
	v_mul_f64 v[198:199], v[129:130], s[42:43]
	v_fma_f64 v[200:201], v[119:120], s[4:5], -v[192:193]
	v_add_f64 v[171:172], v[68:69], v[171:172]
	v_mul_f64 v[202:203], v[149:150], s[22:23]
	v_fma_f64 v[204:205], v[127:128], s[28:29], v[194:195]
	v_add_f64 v[190:191], v[196:197], v[190:191]
	v_add_f64 v[169:170], v[175:176], v[169:170]
	v_mul_f64 v[196:197], v[139:140], s[22:23]
	v_fma_f64 v[175:176], v[125:126], s[28:29], -v[198:199]
	v_fma_f64 v[180:181], v[115:116], s[34:35], -v[180:181]
	v_add_f64 v[171:172], v[200:201], v[171:172]
	v_mul_f64 v[200:201], v[153:154], s[36:37]
	v_fma_f64 v[206:207], v[133:134], s[20:21], v[202:203]
	v_add_f64 v[190:191], v[204:205], v[190:191]
	v_mul_f64 v[204:205], v[147:148], s[36:37]
	v_fma_f64 v[208:209], v[131:132], s[20:21], -v[196:197]
	v_fma_f64 v[188:189], v[121:122], s[4:5], -v[188:189]
	v_add_f64 v[180:181], v[70:71], v[180:181]
	v_add_f64 v[171:172], v[175:176], v[171:172]
	v_mul_f64 v[210:211], v[159:160], s[24:25]
	v_fma_f64 v[175:176], v[137:138], s[26:27], v[200:201]
	v_add_f64 v[190:191], v[206:207], v[190:191]
	v_mul_f64 v[206:207], v[155:156], s[24:25]
	v_fma_f64 v[212:213], v[135:136], s[26:27], -v[204:205]
	v_fma_f64 v[194:195], v[127:128], s[28:29], -v[194:195]
	v_add_f64 v[180:181], v[188:189], v[180:181]
	v_add_f64 v[171:172], v[208:209], v[171:172]
	v_fma_f64 v[178:179], v[141:142], s[26:27], v[178:179]
	v_add_f64 v[169:170], v[186:187], v[169:170]
	v_fma_f64 v[186:187], v[143:144], s[16:17], v[210:211]
	v_add_f64 v[175:176], v[175:176], v[190:191]
	v_fma_f64 v[188:189], v[141:142], s[16:17], -v[206:207]
	v_fma_f64 v[190:191], v[133:134], s[20:21], -v[202:203]
	v_add_f64 v[180:181], v[194:195], v[180:181]
	v_add_f64 v[194:195], v[212:213], v[171:172]
	;; [unrolled: 1-line block ×4, first 2 shown]
	v_fma_f64 v[178:179], v[113:114], s[34:35], v[182:183]
	v_mul_f64 v[184:185], v[151:152], s[36:37]
	v_add_f64 v[175:176], v[186:187], v[175:176]
	v_fma_f64 v[182:183], v[137:138], s[26:27], -v[200:201]
	v_add_f64 v[180:181], v[190:191], v[180:181]
	v_add_f64 v[173:174], v[188:189], v[194:195]
	v_fma_f64 v[186:187], v[119:120], s[4:5], v[192:193]
	v_mul_f64 v[188:189], v[117:118], s[36:37]
	v_add_f64 v[178:179], v[68:69], v[178:179]
	v_mul_f64 v[192:193], v[157:158], s[30:31]
	v_fma_f64 v[194:195], v[115:116], s[26:27], v[184:185]
	v_add_f64 v[82:83], v[70:71], v[82:83]
	v_add_f64 v[80:81], v[68:69], v[80:81]
	;; [unrolled: 1-line block ×3, first 2 shown]
	v_fma_f64 v[182:183], v[125:126], s[28:29], v[198:199]
	v_mul_f64 v[198:199], v[123:124], s[30:31]
	v_fma_f64 v[200:201], v[113:114], s[26:27], -v[188:189]
	v_add_f64 v[178:179], v[186:187], v[178:179]
	v_mul_f64 v[186:187], v[145:146], s[14:15]
	v_fma_f64 v[202:203], v[121:122], s[28:29], v[192:193]
	v_add_f64 v[194:195], v[70:71], v[194:195]
	v_add_f64 v[78:79], v[78:79], v[82:83]
	;; [unrolled: 1-line block ×3, first 2 shown]
	v_fma_f64 v[190:191], v[143:144], s[16:17], -v[210:211]
	v_fma_f64 v[196:197], v[131:132], s[20:21], v[196:197]
	v_fma_f64 v[210:211], v[119:120], s[28:29], -v[198:199]
	v_add_f64 v[200:201], v[68:69], v[200:201]
	v_add_f64 v[178:179], v[182:183], v[178:179]
	v_mul_f64 v[182:183], v[149:150], s[44:45]
	v_fma_f64 v[212:213], v[127:128], s[4:5], v[186:187]
	v_add_f64 v[194:195], v[202:203], v[194:195]
	v_add_f64 v[74:75], v[74:75], v[78:79]
	;; [unrolled: 1-line block ×3, first 2 shown]
	v_fma_f64 v[202:203], v[135:136], s[26:27], v[204:205]
	v_add_f64 v[200:201], v[210:211], v[200:201]
	v_add_f64 v[178:179], v[196:197], v[178:179]
	v_fma_f64 v[210:211], v[133:134], s[16:17], v[182:183]
	v_fma_f64 v[184:185], v[115:116], s[26:27], -v[184:185]
	v_add_f64 v[194:195], v[212:213], v[194:195]
	v_add_f64 v[74:75], v[98:99], v[74:75]
	;; [unrolled: 1-line block ×3, first 2 shown]
	v_fma_f64 v[192:193], v[121:122], s[28:29], -v[192:193]
	v_fma_f64 v[188:189], v[113:114], s[26:27], v[188:189]
	v_add_f64 v[178:179], v[202:203], v[178:179]
	v_mul_f64 v[202:203], v[159:160], s[22:23]
	v_add_f64 v[184:185], v[70:71], v[184:185]
	v_add_f64 v[194:195], v[210:211], v[194:195]
	v_mul_f64 v[210:211], v[155:156], s[22:23]
	s_mov_b32 s23, 0xbfddbe06
	v_add_f64 v[74:75], v[94:95], v[74:75]
	v_add_f64 v[92:93], v[92:93], v[96:97]
	v_mul_f64 v[151:152], v[151:152], s[22:23]
	v_mul_f64 v[94:95], v[117:118], s[22:23]
	;; [unrolled: 1-line block ×3, first 2 shown]
	v_fma_f64 v[186:187], v[127:128], s[4:5], -v[186:187]
	v_add_f64 v[184:185], v[192:193], v[184:185]
	v_fma_f64 v[192:193], v[119:120], s[28:29], v[198:199]
	v_add_f64 v[74:75], v[90:91], v[74:75]
	v_add_f64 v[88:89], v[88:89], v[92:93]
	;; [unrolled: 1-line block ×3, first 2 shown]
	v_mul_f64 v[157:158], v[157:158], s[36:37]
	v_fma_f64 v[198:199], v[115:116], s[20:21], v[151:152]
	v_fma_f64 v[115:116], v[115:116], s[20:21], -v[151:152]
	v_mul_f64 v[123:124], v[123:124], s[36:37]
	v_fma_f64 v[90:91], v[113:114], s[20:21], v[94:95]
	v_fma_f64 v[94:95], v[113:114], s[20:21], -v[94:95]
	v_add_f64 v[74:75], v[86:87], v[74:75]
	v_add_f64 v[84:85], v[84:85], v[88:89]
	v_mul_f64 v[204:205], v[139:140], s[44:45]
	v_fma_f64 v[214:215], v[125:126], s[4:5], -v[208:209]
	v_mul_f64 v[196:197], v[153:154], s[38:39]
	v_fma_f64 v[182:183], v[133:134], s[16:17], -v[182:183]
	v_add_f64 v[184:185], v[186:187], v[184:185]
	v_fma_f64 v[186:187], v[125:126], s[4:5], v[208:209]
	v_add_f64 v[188:189], v[192:193], v[188:189]
	v_mul_f64 v[145:146], v[145:146], s[40:41]
	v_add_f64 v[198:199], v[70:71], v[198:199]
	v_mul_f64 v[92:93], v[129:130], s[40:41]
	v_fma_f64 v[113:114], v[121:122], s[26:27], -v[157:158]
	v_add_f64 v[70:71], v[70:71], v[115:116]
	v_fma_f64 v[115:116], v[119:120], s[26:27], v[123:124]
	v_add_f64 v[86:87], v[68:69], v[90:91]
	v_fma_f64 v[192:193], v[121:122], s[26:27], v[157:158]
	v_fma_f64 v[88:89], v[119:120], s[26:27], -v[123:124]
	v_add_f64 v[68:69], v[68:69], v[94:95]
	v_add_f64 v[18:19], v[18:19], v[74:75]
	;; [unrolled: 1-line block ×3, first 2 shown]
	v_mul_f64 v[212:213], v[147:148], s[38:39]
	v_add_f64 v[200:201], v[214:215], v[200:201]
	v_fma_f64 v[214:215], v[137:138], s[34:35], v[196:197]
	v_fma_f64 v[196:197], v[137:138], s[34:35], -v[196:197]
	v_add_f64 v[80:81], v[182:183], v[184:185]
	v_fma_f64 v[82:83], v[131:132], s[16:17], v[204:205]
	v_add_f64 v[182:183], v[186:187], v[188:189]
	v_mul_f64 v[149:150], v[149:150], s[30:31]
	v_mul_f64 v[139:140], v[139:140], s[30:31]
	v_fma_f64 v[90:91], v[127:128], s[34:35], -v[145:146]
	v_add_f64 v[70:71], v[113:114], v[70:71]
	v_fma_f64 v[94:95], v[125:126], s[34:35], v[92:93]
	v_add_f64 v[74:75], v[115:116], v[86:87]
	v_fma_f64 v[184:185], v[127:128], s[34:35], v[145:146]
	v_add_f64 v[186:187], v[192:193], v[198:199]
	v_fma_f64 v[84:85], v[125:126], s[34:35], -v[92:93]
	v_add_f64 v[68:69], v[88:89], v[68:69]
	v_add_f64 v[14:15], v[14:15], v[18:19]
	;; [unrolled: 1-line block ×4, first 2 shown]
	v_fma_f64 v[78:79], v[135:136], s[34:35], v[212:213]
	v_add_f64 v[80:81], v[82:83], v[182:183]
	v_mul_f64 v[82:83], v[153:154], s[24:25]
	v_mul_f64 v[117:118], v[147:148], s[24:25]
	v_fma_f64 v[86:87], v[133:134], s[28:29], -v[149:150]
	v_add_f64 v[70:71], v[90:91], v[70:71]
	v_fma_f64 v[88:89], v[131:132], s[28:29], v[139:140]
	v_add_f64 v[16:17], v[94:95], v[74:75]
	v_fma_f64 v[216:217], v[131:132], s[16:17], -v[204:205]
	v_fma_f64 v[153:154], v[133:134], s[28:29], v[149:150]
	v_add_f64 v[182:183], v[184:185], v[186:187]
	v_fma_f64 v[18:19], v[131:132], s[28:29], -v[139:140]
	v_add_f64 v[68:69], v[84:85], v[68:69]
	v_add_f64 v[10:11], v[10:11], v[14:15]
	v_add_f64 v[8:9], v[8:9], v[12:13]
	v_add_f64 v[78:79], v[78:79], v[80:81]
	v_mul_f64 v[80:81], v[159:160], s[14:15]
	v_fma_f64 v[98:99], v[137:138], s[16:17], v[82:83]
	v_mul_f64 v[96:97], v[155:156], s[14:15]
	v_fma_f64 v[74:75], v[137:138], s[16:17], -v[82:83]
	v_add_f64 v[70:71], v[86:87], v[70:71]
	v_fma_f64 v[82:83], v[135:136], s[16:17], v[117:118]
	v_add_f64 v[12:13], v[88:89], v[16:17]
	v_add_f64 v[180:181], v[190:191], v[180:181]
	v_fma_f64 v[190:191], v[143:144], s[20:21], v[202:203]
	v_fma_f64 v[202:203], v[143:144], s[20:21], -v[202:203]
	v_fma_f64 v[206:207], v[141:142], s[16:17], v[206:207]
	v_fma_f64 v[218:219], v[135:136], s[34:35], -v[212:213]
	v_add_f64 v[200:201], v[216:217], v[200:201]
	v_add_f64 v[153:154], v[153:154], v[182:183]
	v_fma_f64 v[14:15], v[135:136], s[16:17], -v[117:118]
	v_add_f64 v[16:17], v[18:19], v[68:69]
	v_add_f64 v[6:7], v[6:7], v[10:11]
	;; [unrolled: 1-line block ×3, first 2 shown]
	v_fma_f64 v[18:19], v[143:144], s[4:5], -v[80:81]
	v_add_f64 v[68:69], v[74:75], v[70:71]
	v_fma_f64 v[70:71], v[141:142], s[4:5], v[96:97]
	v_add_f64 v[12:13], v[82:83], v[12:13]
	v_add_f64 v[72:73], v[202:203], v[76:77]
	v_fma_f64 v[76:77], v[141:142], s[20:21], v[210:211]
	v_add_f64 v[178:179], v[206:207], v[178:179]
	v_add_f64 v[194:195], v[214:215], v[194:195]
	v_fma_f64 v[206:207], v[141:142], s[20:21], -v[210:211]
	v_add_f64 v[200:201], v[218:219], v[200:201]
	v_fma_f64 v[74:75], v[143:144], s[4:5], v[80:81]
	v_add_f64 v[80:81], v[98:99], v[153:154]
	v_fma_f64 v[82:83], v[141:142], s[4:5], -v[96:97]
	v_add_f64 v[14:15], v[14:15], v[16:17]
	v_add_f64 v[8:9], v[2:3], v[6:7]
	;; [unrolled: 1-line block ×6, first 2 shown]
	v_lshlrev_b32_e32 v0, 4, v246
	v_add_f64 v[12:13], v[190:191], v[194:195]
	v_add_f64 v[10:11], v[206:207], v[200:201]
	;; [unrolled: 1-line block ×4, first 2 shown]
	ds_write_b128 v0, v[6:9]
	ds_write_b128 v0, v[2:5] offset:16
	ds_write_b128 v0, v[70:73] offset:32
	;; [unrolled: 1-line block ×12, first 2 shown]
.LBB0_17:
	s_or_b64 exec, exec, s[18:19]
	s_waitcnt lgkmcnt(0)
	; wave barrier
	s_waitcnt lgkmcnt(0)
	ds_read_b128 v[0:3], v245 offset:832
	ds_read_b128 v[4:7], v245 offset:1664
	;; [unrolled: 1-line block ×3, first 2 shown]
	ds_read_b128 v[12:15], v245
	ds_read_b128 v[16:19], v245 offset:3328
	ds_read_b128 v[68:71], v245 offset:4160
	;; [unrolled: 1-line block ×3, first 2 shown]
	s_mov_b32 s4, 0x37e14327
	s_waitcnt lgkmcnt(6)
	v_mul_f64 v[76:77], v[34:35], v[2:3]
	v_mul_f64 v[34:35], v[34:35], v[0:1]
	s_waitcnt lgkmcnt(5)
	v_mul_f64 v[78:79], v[30:31], v[6:7]
	v_mul_f64 v[30:31], v[30:31], v[4:5]
	s_mov_b32 s5, 0x3fe948f6
	s_mov_b32 s14, 0xe976ee23
	;; [unrolled: 1-line block ×4, first 2 shown]
	v_fma_f64 v[0:1], v[32:33], v[0:1], v[76:77]
	v_fma_f64 v[2:3], v[32:33], v[2:3], -v[34:35]
	v_fma_f64 v[4:5], v[28:29], v[4:5], v[78:79]
	v_fma_f64 v[6:7], v[28:29], v[6:7], -v[30:31]
	s_waitcnt lgkmcnt(0)
	v_mul_f64 v[28:29], v[38:39], v[74:75]
	v_mul_f64 v[30:31], v[38:39], v[72:73]
	;; [unrolled: 1-line block ×8, first 2 shown]
	v_fma_f64 v[28:29], v[36:37], v[72:73], v[28:29]
	v_fma_f64 v[30:31], v[36:37], v[74:75], -v[30:31]
	v_fma_f64 v[8:9], v[24:25], v[8:9], v[32:33]
	v_fma_f64 v[10:11], v[24:25], v[10:11], -v[26:27]
	;; [unrolled: 2-line block ×4, first 2 shown]
	v_add_f64 v[20:21], v[0:1], v[28:29]
	v_add_f64 v[22:23], v[2:3], v[30:31]
	v_add_f64 v[0:1], v[0:1], -v[28:29]
	v_add_f64 v[2:3], v[2:3], -v[30:31]
	v_add_f64 v[28:29], v[4:5], v[24:25]
	v_add_f64 v[30:31], v[6:7], v[26:27]
	v_add_f64 v[4:5], v[4:5], -v[24:25]
	v_add_f64 v[6:7], v[6:7], -v[26:27]
	;; [unrolled: 4-line block ×4, first 2 shown]
	v_add_f64 v[20:21], v[20:21], -v[24:25]
	v_add_f64 v[22:23], v[22:23], -v[26:27]
	;; [unrolled: 1-line block ×4, first 2 shown]
	v_add_f64 v[36:37], v[8:9], v[4:5]
	v_add_f64 v[38:39], v[10:11], v[6:7]
	v_add_f64 v[40:41], v[8:9], -v[4:5]
	v_add_f64 v[42:43], v[10:11], -v[6:7]
	v_add_f64 v[16:17], v[24:25], v[16:17]
	v_add_f64 v[18:19], v[26:27], v[18:19]
	v_add_f64 v[4:5], v[4:5], -v[0:1]
	v_add_f64 v[6:7], v[6:7], -v[2:3]
	v_mul_f64 v[20:21], v[20:21], s[4:5]
	v_mul_f64 v[22:23], v[22:23], s[4:5]
	s_mov_b32 s4, 0x36b3c0b5
	s_mov_b32 s5, 0x3fac98ee
	v_mul_f64 v[24:25], v[28:29], s[4:5]
	v_mul_f64 v[26:27], v[30:31], s[4:5]
	v_add_f64 v[8:9], v[0:1], -v[8:9]
	v_add_f64 v[10:11], v[2:3], -v[10:11]
	v_add_f64 v[0:1], v[36:37], v[0:1]
	v_add_f64 v[2:3], v[38:39], v[2:3]
	v_mul_f64 v[36:37], v[40:41], s[14:15]
	v_mul_f64 v[38:39], v[42:43], s[14:15]
	s_mov_b32 s14, 0x429ad128
	v_add_f64 v[12:13], v[12:13], v[16:17]
	v_add_f64 v[14:15], v[14:15], v[18:19]
	s_mov_b32 s15, 0xbfebfeb5
	v_mul_f64 v[40:41], v[4:5], s[14:15]
	v_mul_f64 v[42:43], v[6:7], s[14:15]
	v_fma_f64 v[28:29], v[28:29], s[4:5], v[20:21]
	v_fma_f64 v[30:31], v[30:31], s[4:5], v[22:23]
	s_mov_b32 s5, 0x3fe77f67
	s_mov_b32 s4, 0x5476071b
	v_fma_f64 v[24:25], v[32:33], s[4:5], -v[24:25]
	v_fma_f64 v[26:27], v[34:35], s[4:5], -v[26:27]
	s_mov_b32 s5, 0xbfe77f67
	s_mov_b32 s17, 0xbff2aaaa
	v_fma_f64 v[20:21], v[32:33], s[4:5], -v[20:21]
	v_fma_f64 v[22:23], v[34:35], s[4:5], -v[22:23]
	s_mov_b32 s5, 0xbfd5d0dc
	s_mov_b32 s4, 0xb247c609
	v_fma_f64 v[16:17], v[16:17], s[16:17], v[12:13]
	v_fma_f64 v[18:19], v[18:19], s[16:17], v[14:15]
	;; [unrolled: 1-line block ×4, first 2 shown]
	s_mov_b32 s5, 0x3fd5d0dc
	v_fma_f64 v[8:9], v[8:9], s[4:5], -v[40:41]
	v_fma_f64 v[10:11], v[10:11], s[4:5], -v[42:43]
	;; [unrolled: 1-line block ×4, first 2 shown]
	s_mov_b32 s4, 0x37c3f68c
	s_mov_b32 s5, 0xbfdc38aa
	v_add_f64 v[28:29], v[28:29], v[16:17]
	v_add_f64 v[30:31], v[30:31], v[18:19]
	v_fma_f64 v[34:35], v[2:3], s[4:5], v[34:35]
	v_fma_f64 v[32:33], v[0:1], s[4:5], v[32:33]
	v_add_f64 v[40:41], v[20:21], v[16:17]
	v_add_f64 v[42:43], v[22:23], v[18:19]
	v_fma_f64 v[10:11], v[2:3], s[4:5], v[10:11]
	v_fma_f64 v[8:9], v[0:1], s[4:5], v[8:9]
	;; [unrolled: 4-line block ×3, first 2 shown]
	v_add_f64 v[16:17], v[34:35], v[28:29]
	v_add_f64 v[18:19], v[30:31], -v[32:33]
	v_add_f64 v[20:21], v[10:11], v[40:41]
	v_add_f64 v[22:23], v[42:43], -v[8:9]
	;; [unrolled: 2-line block ×3, first 2 shown]
	v_add_f64 v[24:25], v[36:37], -v[2:3]
	v_add_f64 v[26:27], v[4:5], v[38:39]
	v_add_f64 v[0:1], v[2:3], v[36:37]
	v_add_f64 v[2:3], v[38:39], -v[4:5]
	v_add_f64 v[4:5], v[40:41], -v[10:11]
	v_add_f64 v[10:11], v[32:33], v[30:31]
	s_waitcnt lgkmcnt(0)
	; wave barrier
	ds_write_b128 v177, v[12:15]
	ds_write_b128 v177, v[16:19] offset:208
	ds_write_b128 v177, v[20:23] offset:416
	;; [unrolled: 1-line block ×6, first 2 shown]
	s_waitcnt lgkmcnt(0)
	; wave barrier
	s_waitcnt lgkmcnt(0)
	ds_read_b128 v[12:15], v245
	ds_read_b128 v[24:27], v245 offset:1456
	ds_read_b128 v[20:23], v245 offset:2912
	;; [unrolled: 1-line block ×3, first 2 shown]
	s_and_saveexec_b64 s[4:5], s[2:3]
	s_cbranch_execz .LBB0_19
; %bb.18:
	ds_read_b128 v[0:3], v245 offset:832
	ds_read_b128 v[4:7], v245 offset:2288
	;; [unrolled: 1-line block ×4, first 2 shown]
.LBB0_19:
	s_or_b64 exec, exec, s[4:5]
	s_waitcnt lgkmcnt(2)
	v_mul_f64 v[28:29], v[66:67], v[26:27]
	v_mul_f64 v[30:31], v[66:67], v[24:25]
	s_waitcnt lgkmcnt(1)
	v_mul_f64 v[32:33], v[62:63], v[22:23]
	v_mul_f64 v[34:35], v[62:63], v[20:21]
	;; [unrolled: 3-line block ×3, first 2 shown]
	v_fma_f64 v[24:25], v[64:65], v[24:25], v[28:29]
	v_fma_f64 v[26:27], v[64:65], v[26:27], -v[30:31]
	v_fma_f64 v[20:21], v[60:61], v[20:21], v[32:33]
	v_fma_f64 v[22:23], v[60:61], v[22:23], -v[34:35]
	;; [unrolled: 2-line block ×3, first 2 shown]
	v_add_f64 v[20:21], v[12:13], -v[20:21]
	v_add_f64 v[22:23], v[14:15], -v[22:23]
	;; [unrolled: 1-line block ×4, first 2 shown]
	v_fma_f64 v[28:29], v[12:13], 2.0, -v[20:21]
	v_fma_f64 v[30:31], v[14:15], 2.0, -v[22:23]
	;; [unrolled: 1-line block ×4, first 2 shown]
	v_add_f64 v[12:13], v[20:21], v[18:19]
	v_add_f64 v[14:15], v[22:23], -v[16:17]
	v_add_f64 v[16:17], v[28:29], -v[24:25]
	;; [unrolled: 1-line block ×3, first 2 shown]
	v_fma_f64 v[20:21], v[20:21], 2.0, -v[12:13]
	v_fma_f64 v[22:23], v[22:23], 2.0, -v[14:15]
	;; [unrolled: 1-line block ×4, first 2 shown]
	ds_write_b128 v245, v[20:23] offset:1456
	ds_write_b128 v245, v[16:19] offset:2912
	ds_write_b128 v245, v[24:27]
	ds_write_b128 v245, v[12:15] offset:4368
	s_and_saveexec_b64 s[4:5], s[2:3]
	s_cbranch_execz .LBB0_21
; %bb.20:
	v_mul_f64 v[12:13], v[50:51], v[8:9]
	v_mul_f64 v[14:15], v[54:55], v[6:7]
	;; [unrolled: 1-line block ×6, first 2 shown]
	v_fma_f64 v[10:11], v[48:49], v[10:11], -v[12:13]
	v_fma_f64 v[4:5], v[52:53], v[4:5], v[14:15]
	v_fma_f64 v[6:7], v[52:53], v[6:7], -v[16:17]
	v_fma_f64 v[12:13], v[44:45], v[102:103], -v[18:19]
	v_fma_f64 v[8:9], v[48:49], v[8:9], v[20:21]
	v_fma_f64 v[14:15], v[44:45], v[100:101], v[22:23]
	v_add_f64 v[10:11], v[2:3], -v[10:11]
	v_add_f64 v[12:13], v[6:7], -v[12:13]
	;; [unrolled: 1-line block ×4, first 2 shown]
	v_fma_f64 v[16:17], v[2:3], 2.0, -v[10:11]
	v_fma_f64 v[6:7], v[6:7], 2.0, -v[12:13]
	;; [unrolled: 1-line block ×4, first 2 shown]
	v_add_f64 v[2:3], v[10:11], -v[14:15]
	v_add_f64 v[0:1], v[8:9], v[12:13]
	v_add_f64 v[6:7], v[16:17], -v[6:7]
	v_add_f64 v[4:5], v[18:19], -v[4:5]
	v_fma_f64 v[10:11], v[10:11], 2.0, -v[2:3]
	v_fma_f64 v[8:9], v[8:9], 2.0, -v[0:1]
	;; [unrolled: 1-line block ×4, first 2 shown]
	ds_write_b128 v245, v[8:11] offset:2288
	ds_write_b128 v245, v[4:7] offset:3744
	;; [unrolled: 1-line block ×4, first 2 shown]
.LBB0_21:
	s_or_b64 exec, exec, s[4:5]
	s_waitcnt lgkmcnt(0)
	; wave barrier
	s_waitcnt lgkmcnt(0)
	s_and_b64 exec, exec, s[0:1]
	s_cbranch_execz .LBB0_23
; %bb.22:
	global_load_dwordx4 v[0:3], v245, s[12:13]
	global_load_dwordx4 v[4:7], v245, s[12:13] offset:448
	global_load_dwordx4 v[8:11], v245, s[12:13] offset:896
	;; [unrolled: 1-line block ×4, first 2 shown]
	buffer_load_dword v20, off, s[48:51], 0 ; 4-byte Folded Reload
	buffer_load_dword v21, off, s[48:51], 0 offset:4 ; 4-byte Folded Reload
	v_mad_u64_u32 v[70:71], s[2:3], s8, v112, 0
	v_mov_b32_e32 v72, s13
	s_mul_i32 s3, s9, 0x1c0
	s_mul_hi_u32 s4, s8, 0x1c0
	v_add_co_u32_e32 v75, vcc, s12, v245
	v_addc_co_u32_e32 v77, vcc, 0, v72, vcc
	s_add_i32 s3, s4, s3
	v_mov_b32_e32 v76, s7
	s_movk_i32 s7, 0x1000
	s_mul_i32 s2, s8, 0x1c0
	v_mov_b32_e32 v78, s3
	v_mov_b32_e32 v79, s3
	v_mov_b32_e32 v80, s3
	s_waitcnt vmcnt(1)
	v_mov_b32_e32 v73, v20
	s_waitcnt vmcnt(0)
	ds_read_b128 v[20:23], v245
	ds_read_b128 v[24:27], v245 offset:448
	ds_read_b128 v[28:31], v245 offset:896
	;; [unrolled: 1-line block ×3, first 2 shown]
	global_load_dwordx4 v[36:39], v245, s[12:13] offset:2240
	ds_read_b128 v[40:43], v245 offset:1792
	ds_read_b128 v[44:47], v245 offset:2240
	global_load_dwordx4 v[48:51], v245, s[12:13] offset:2688
	global_load_dwordx4 v[52:55], v245, s[12:13] offset:3136
	;; [unrolled: 1-line block ×4, first 2 shown]
	v_mad_u64_u32 v[68:69], s[0:1], s10, v73, 0
	s_waitcnt lgkmcnt(3)
	v_mul_f64 v[82:83], v[30:31], v[10:11]
	v_mul_f64 v[10:11], v[28:29], v[10:11]
	v_mad_u64_u32 v[72:73], s[4:5], s11, v73, v[69:70]
	s_waitcnt lgkmcnt(2)
	v_mul_f64 v[84:85], v[34:35], v[14:15]
	v_mul_f64 v[14:15], v[32:33], v[14:15]
	v_mad_u64_u32 v[73:74], s[4:5], s9, v112, v[71:72]
	v_mov_b32_e32 v69, v72
	v_add_co_u32_e32 v74, vcc, s7, v75
	v_lshlrev_b64 v[68:69], 4, v[68:69]
	v_addc_co_u32_e32 v75, vcc, 0, v77, vcc
	v_mov_b32_e32 v71, v73
	v_lshlrev_b64 v[70:71], 4, v[70:71]
	v_add_co_u32_e32 v88, vcc, s6, v68
	v_addc_co_u32_e32 v89, vcc, v76, v69, vcc
	v_add_co_u32_e32 v68, vcc, v88, v70
	v_addc_co_u32_e32 v69, vcc, v89, v71, vcc
	;; [unrolled: 2-line block ×4, first 2 shown]
	v_add_co_u32_e32 v76, vcc, s2, v72
	v_mul_f64 v[78:79], v[22:23], v[2:3]
	v_mul_f64 v[2:3], v[20:21], v[2:3]
	v_addc_co_u32_e32 v77, vcc, v73, v80, vcc
	v_mul_f64 v[80:81], v[26:27], v[6:7]
	v_mul_f64 v[6:7], v[24:25], v[6:7]
	s_waitcnt lgkmcnt(1)
	v_mul_f64 v[86:87], v[42:43], v[18:19]
	v_mul_f64 v[18:19], v[40:41], v[18:19]
	v_fma_f64 v[20:21], v[20:21], v[0:1], v[78:79]
	v_fma_f64 v[2:3], v[0:1], v[22:23], -v[2:3]
	v_fma_f64 v[10:11], v[8:9], v[30:31], -v[10:11]
	;; [unrolled: 1-line block ×3, first 2 shown]
	v_fma_f64 v[22:23], v[24:25], v[4:5], v[80:81]
	v_fma_f64 v[6:7], v[4:5], v[26:27], -v[6:7]
	v_fma_f64 v[24:25], v[28:29], v[8:9], v[82:83]
	v_fma_f64 v[26:27], v[32:33], v[12:13], v[84:85]
	s_mov_b32 s0, 0x16816817
	s_mov_b32 s1, 0x3f668168
	v_mul_f64 v[0:1], v[20:21], s[0:1]
	v_mul_f64 v[2:3], v[2:3], s[0:1]
	;; [unrolled: 1-line block ×4, first 2 shown]
	v_fma_f64 v[20:21], v[40:41], v[16:17], v[86:87]
	v_fma_f64 v[22:23], v[16:17], v[42:43], -v[18:19]
	global_load_dwordx4 v[16:19], v[74:75], off offset:384
	v_mul_f64 v[8:9], v[24:25], s[0:1]
	v_mul_f64 v[10:11], v[10:11], s[0:1]
	;; [unrolled: 1-line block ×4, first 2 shown]
	ds_read_b128 v[64:67], v245 offset:5376
	global_store_dwordx4 v[68:69], v[0:3], off
	global_store_dwordx4 v[70:71], v[4:7], off
	;; [unrolled: 1-line block ×4, first 2 shown]
	global_load_dwordx4 v[4:7], v[74:75], off offset:832
	s_nop 0
	global_load_dwordx4 v[12:15], v[74:75], off offset:1280
	ds_read_b128 v[8:11], v245 offset:2688
	v_mul_f64 v[0:1], v[20:21], s[0:1]
	v_mul_f64 v[2:3], v[22:23], s[0:1]
	ds_read_b128 v[20:23], v245 offset:3136
	v_mov_b32_e32 v33, s3
	s_waitcnt vmcnt(11) lgkmcnt(3)
	v_mul_f64 v[24:25], v[46:47], v[38:39]
	v_mul_f64 v[26:27], v[44:45], v[38:39]
	s_waitcnt vmcnt(10) lgkmcnt(1)
	v_mul_f64 v[28:29], v[10:11], v[50:51]
	v_mul_f64 v[30:31], v[8:9], v[50:51]
	v_add_co_u32_e32 v32, vcc, s2, v76
	v_addc_co_u32_e32 v33, vcc, v77, v33, vcc
	v_fma_f64 v[24:25], v[44:45], v[36:37], v[24:25]
	v_fma_f64 v[26:27], v[36:37], v[46:47], -v[26:27]
	global_store_dwordx4 v[32:33], v[0:3], off
	v_fma_f64 v[8:9], v[8:9], v[48:49], v[28:29]
	v_fma_f64 v[10:11], v[48:49], v[10:11], -v[30:31]
	v_mov_b32_e32 v34, s3
	v_add_co_u32_e32 v28, vcc, s2, v32
	v_mul_f64 v[0:1], v[24:25], s[0:1]
	v_mul_f64 v[2:3], v[26:27], s[0:1]
	s_waitcnt vmcnt(10) lgkmcnt(0)
	v_mul_f64 v[24:25], v[22:23], v[54:55]
	v_mul_f64 v[26:27], v[20:21], v[54:55]
	v_addc_co_u32_e32 v29, vcc, v33, v34, vcc
	v_or_b32_e32 v34, 0xe0, v112
	v_mad_u64_u32 v[30:31], s[4:5], s8, v34, 0
	global_store_dwordx4 v[28:29], v[0:3], off
	v_mov_b32_e32 v32, s3
	v_mul_f64 v[0:1], v[8:9], s[0:1]
	v_mul_f64 v[2:3], v[10:11], s[0:1]
	v_fma_f64 v[8:9], v[20:21], v[52:53], v[24:25]
	v_fma_f64 v[20:21], v[52:53], v[22:23], -v[26:27]
	v_mov_b32_e32 v10, s3
	v_add_co_u32_e32 v24, vcc, s2, v28
	v_addc_co_u32_e32 v25, vcc, v29, v10, vcc
	global_store_dwordx4 v[24:25], v[0:3], off
	v_add_co_u32_e32 v24, vcc, s2, v24
	v_mul_f64 v[0:1], v[8:9], s[0:1]
	ds_read_b128 v[8:11], v245 offset:3584
	v_mul_f64 v[2:3], v[20:21], s[0:1]
	ds_read_b128 v[20:23], v245 offset:4032
	v_addc_co_u32_e32 v25, vcc, v25, v32, vcc
	s_waitcnt vmcnt(11) lgkmcnt(1)
	v_mul_f64 v[26:27], v[10:11], v[58:59]
	v_mul_f64 v[28:29], v[8:9], v[58:59]
	s_waitcnt vmcnt(10) lgkmcnt(0)
	v_mul_f64 v[32:33], v[20:21], v[62:63]
	global_store_dwordx4 v[24:25], v[0:3], off
	v_fma_f64 v[8:9], v[8:9], v[56:57], v[26:27]
	v_fma_f64 v[10:11], v[56:57], v[10:11], -v[28:29]
	v_mul_f64 v[27:28], v[22:23], v[62:63]
	v_mov_b32_e32 v26, v31
	v_fma_f64 v[22:23], v[60:61], v[22:23], -v[32:33]
	v_mul_f64 v[0:1], v[8:9], s[0:1]
	v_mul_f64 v[2:3], v[10:11], s[0:1]
	v_mad_u64_u32 v[34:35], s[4:5], s9, v34, v[26:27]
	ds_read_b128 v[8:11], v245 offset:4480
	v_fma_f64 v[20:21], v[20:21], v[60:61], v[27:28]
	v_mov_b32_e32 v31, v34
	v_lshlrev_b64 v[29:30], 4, v[30:31]
	v_add_co_u32_e32 v26, vcc, v88, v29
	v_addc_co_u32_e32 v27, vcc, v89, v30, vcc
	global_store_dwordx4 v[26:27], v[0:3], off
	ds_read_b128 v[0:3], v245 offset:4928
	s_waitcnt vmcnt(11) lgkmcnt(1)
	v_mul_f64 v[26:27], v[10:11], v[18:19]
	v_mul_f64 v[28:29], v[8:9], v[18:19]
	;; [unrolled: 1-line block ×4, first 2 shown]
	v_mov_b32_e32 v22, 0x380
	v_mad_u64_u32 v[22:23], s[4:5], s8, v22, v[24:25]
	s_waitcnt vmcnt(6) lgkmcnt(0)
	v_mul_f64 v[24:25], v[0:1], v[6:7]
	v_fma_f64 v[8:9], v[8:9], v[16:17], v[26:27]
	v_fma_f64 v[10:11], v[16:17], v[10:11], -v[28:29]
	v_mul_f64 v[16:17], v[2:3], v[6:7]
	s_waitcnt vmcnt(5)
	v_mul_f64 v[26:27], v[66:67], v[14:15]
	v_mul_f64 v[14:15], v[64:65], v[14:15]
	s_mul_i32 s4, s9, 0x380
	v_add_u32_e32 v23, s4, v23
	v_fma_f64 v[2:3], v[4:5], v[2:3], -v[24:25]
	v_mul_f64 v[6:7], v[8:9], s[0:1]
	v_mul_f64 v[8:9], v[10:11], s[0:1]
	v_fma_f64 v[0:1], v[0:1], v[4:5], v[16:17]
	v_fma_f64 v[4:5], v[64:65], v[12:13], v[26:27]
	v_fma_f64 v[10:11], v[12:13], v[66:67], -v[14:15]
	global_store_dwordx4 v[22:23], v[18:21], off
	v_add_co_u32_e32 v12, vcc, s2, v22
	v_mov_b32_e32 v18, s3
	v_mul_f64 v[2:3], v[2:3], s[0:1]
	v_mul_f64 v[0:1], v[0:1], s[0:1]
	v_addc_co_u32_e32 v13, vcc, v23, v18, vcc
	global_store_dwordx4 v[12:13], v[6:9], off
	v_mul_f64 v[4:5], v[4:5], s[0:1]
	v_mul_f64 v[6:7], v[10:11], s[0:1]
	v_mov_b32_e32 v9, s3
	v_add_co_u32_e32 v8, vcc, s2, v12
	v_addc_co_u32_e32 v9, vcc, v13, v9, vcc
	global_store_dwordx4 v[8:9], v[0:3], off
	s_nop 0
	v_mov_b32_e32 v1, s3
	v_add_co_u32_e32 v0, vcc, s2, v8
	v_addc_co_u32_e32 v1, vcc, v9, v1, vcc
	global_store_dwordx4 v[0:1], v[4:7], off
.LBB0_23:
	s_endpgm
	.section	.rodata,"a",@progbits
	.p2align	6, 0x0
	.amdhsa_kernel bluestein_single_back_len364_dim1_dp_op_CI_CI
		.amdhsa_group_segment_fixed_size 5824
		.amdhsa_private_segment_fixed_size 20
		.amdhsa_kernarg_size 104
		.amdhsa_user_sgpr_count 6
		.amdhsa_user_sgpr_private_segment_buffer 1
		.amdhsa_user_sgpr_dispatch_ptr 0
		.amdhsa_user_sgpr_queue_ptr 0
		.amdhsa_user_sgpr_kernarg_segment_ptr 1
		.amdhsa_user_sgpr_dispatch_id 0
		.amdhsa_user_sgpr_flat_scratch_init 0
		.amdhsa_user_sgpr_private_segment_size 0
		.amdhsa_uses_dynamic_stack 0
		.amdhsa_system_sgpr_private_segment_wavefront_offset 1
		.amdhsa_system_sgpr_workgroup_id_x 1
		.amdhsa_system_sgpr_workgroup_id_y 0
		.amdhsa_system_sgpr_workgroup_id_z 0
		.amdhsa_system_sgpr_workgroup_info 0
		.amdhsa_system_vgpr_workitem_id 0
		.amdhsa_next_free_vgpr 256
		.amdhsa_next_free_sgpr 52
		.amdhsa_reserve_vcc 1
		.amdhsa_reserve_flat_scratch 0
		.amdhsa_float_round_mode_32 0
		.amdhsa_float_round_mode_16_64 0
		.amdhsa_float_denorm_mode_32 3
		.amdhsa_float_denorm_mode_16_64 3
		.amdhsa_dx10_clamp 1
		.amdhsa_ieee_mode 1
		.amdhsa_fp16_overflow 0
		.amdhsa_exception_fp_ieee_invalid_op 0
		.amdhsa_exception_fp_denorm_src 0
		.amdhsa_exception_fp_ieee_div_zero 0
		.amdhsa_exception_fp_ieee_overflow 0
		.amdhsa_exception_fp_ieee_underflow 0
		.amdhsa_exception_fp_ieee_inexact 0
		.amdhsa_exception_int_div_zero 0
	.end_amdhsa_kernel
	.text
.Lfunc_end0:
	.size	bluestein_single_back_len364_dim1_dp_op_CI_CI, .Lfunc_end0-bluestein_single_back_len364_dim1_dp_op_CI_CI
                                        ; -- End function
	.section	.AMDGPU.csdata,"",@progbits
; Kernel info:
; codeLenInByte = 15532
; NumSgprs: 56
; NumVgprs: 256
; ScratchSize: 20
; MemoryBound: 0
; FloatMode: 240
; IeeeMode: 1
; LDSByteSize: 5824 bytes/workgroup (compile time only)
; SGPRBlocks: 6
; VGPRBlocks: 63
; NumSGPRsForWavesPerEU: 56
; NumVGPRsForWavesPerEU: 256
; Occupancy: 1
; WaveLimiterHint : 1
; COMPUTE_PGM_RSRC2:SCRATCH_EN: 1
; COMPUTE_PGM_RSRC2:USER_SGPR: 6
; COMPUTE_PGM_RSRC2:TRAP_HANDLER: 0
; COMPUTE_PGM_RSRC2:TGID_X_EN: 1
; COMPUTE_PGM_RSRC2:TGID_Y_EN: 0
; COMPUTE_PGM_RSRC2:TGID_Z_EN: 0
; COMPUTE_PGM_RSRC2:TIDIG_COMP_CNT: 0
	.type	__hip_cuid_5329c1d45aaba4b5,@object ; @__hip_cuid_5329c1d45aaba4b5
	.section	.bss,"aw",@nobits
	.globl	__hip_cuid_5329c1d45aaba4b5
__hip_cuid_5329c1d45aaba4b5:
	.byte	0                               ; 0x0
	.size	__hip_cuid_5329c1d45aaba4b5, 1

	.ident	"AMD clang version 19.0.0git (https://github.com/RadeonOpenCompute/llvm-project roc-6.4.0 25133 c7fe45cf4b819c5991fe208aaa96edf142730f1d)"
	.section	".note.GNU-stack","",@progbits
	.addrsig
	.addrsig_sym __hip_cuid_5329c1d45aaba4b5
	.amdgpu_metadata
---
amdhsa.kernels:
  - .args:
      - .actual_access:  read_only
        .address_space:  global
        .offset:         0
        .size:           8
        .value_kind:     global_buffer
      - .actual_access:  read_only
        .address_space:  global
        .offset:         8
        .size:           8
        .value_kind:     global_buffer
      - .actual_access:  read_only
        .address_space:  global
        .offset:         16
        .size:           8
        .value_kind:     global_buffer
      - .actual_access:  read_only
        .address_space:  global
        .offset:         24
        .size:           8
        .value_kind:     global_buffer
      - .actual_access:  read_only
        .address_space:  global
        .offset:         32
        .size:           8
        .value_kind:     global_buffer
      - .offset:         40
        .size:           8
        .value_kind:     by_value
      - .address_space:  global
        .offset:         48
        .size:           8
        .value_kind:     global_buffer
      - .address_space:  global
        .offset:         56
        .size:           8
        .value_kind:     global_buffer
      - .address_space:  global
        .offset:         64
        .size:           8
        .value_kind:     global_buffer
      - .address_space:  global
        .offset:         72
        .size:           8
        .value_kind:     global_buffer
      - .offset:         80
        .size:           4
        .value_kind:     by_value
      - .address_space:  global
        .offset:         88
        .size:           8
        .value_kind:     global_buffer
      - .address_space:  global
        .offset:         96
        .size:           8
        .value_kind:     global_buffer
    .group_segment_fixed_size: 5824
    .kernarg_segment_align: 8
    .kernarg_segment_size: 104
    .language:       OpenCL C
    .language_version:
      - 2
      - 0
    .max_flat_workgroup_size: 52
    .name:           bluestein_single_back_len364_dim1_dp_op_CI_CI
    .private_segment_fixed_size: 20
    .sgpr_count:     56
    .sgpr_spill_count: 0
    .symbol:         bluestein_single_back_len364_dim1_dp_op_CI_CI.kd
    .uniform_work_group_size: 1
    .uses_dynamic_stack: false
    .vgpr_count:     256
    .vgpr_spill_count: 4
    .wavefront_size: 64
amdhsa.target:   amdgcn-amd-amdhsa--gfx906
amdhsa.version:
  - 1
  - 2
...

	.end_amdgpu_metadata
